;; amdgpu-corpus repo=zjin-lcf/HeCBench kind=compiled arch=gfx906 opt=O3
	.amdgcn_target "amdgcn-amd-amdhsa--gfx906"
	.amdhsa_code_object_version 6
	.text
	.protected	_Z18bond_wlcpowallviscPdS_S_PK15HIP_vector_typeIfLj4EES3_PKiPKS0_IiLj2EEPKdPKfSC_SC_SC_SC_SC_SC_SC_S0_IfLj3EEiii ; -- Begin function _Z18bond_wlcpowallviscPdS_S_PK15HIP_vector_typeIfLj4EES3_PKiPKS0_IiLj2EEPKdPKfSC_SC_SC_SC_SC_SC_SC_S0_IfLj3EEiii
	.globl	_Z18bond_wlcpowallviscPdS_S_PK15HIP_vector_typeIfLj4EES3_PKiPKS0_IiLj2EEPKdPKfSC_SC_SC_SC_SC_SC_SC_S0_IfLj3EEiii
	.p2align	8
	.type	_Z18bond_wlcpowallviscPdS_S_PK15HIP_vector_typeIfLj4EES3_PKiPKS0_IiLj2EEPKdPKfSC_SC_SC_SC_SC_SC_SC_S0_IfLj3EEiii,@function
_Z18bond_wlcpowallviscPdS_S_PK15HIP_vector_typeIfLj4EES3_PKiPKS0_IiLj2EEPKdPKfSC_SC_SC_SC_SC_SC_SC_S0_IfLj3EEiii: ; @_Z18bond_wlcpowallviscPdS_S_PK15HIP_vector_typeIfLj4EES3_PKiPKS0_IiLj2EEPKdPKfSC_SC_SC_SC_SC_SC_SC_S0_IfLj3EEiii
; %bb.0:
	s_load_dwordx2 s[28:29], s[4:5], 0x90
	s_load_dwordx4 s[24:27], s[4:5], 0x80
	s_mov_b64 s[62:63], s[2:3]
	s_mov_b64 s[60:61], s[0:1]
	s_add_u32 s60, s60, s7
	s_addc_u32 s61, s61, 0
	s_waitcnt lgkmcnt(0)
	s_add_i32 s33, s28, 1
	s_lshl_b32 s7, s33, 2
	s_add_u32 s0, s4, 0x98
	v_cmp_ge_i32_e32 vcc, s28, v0
	s_addc_u32 s1, s5, 0
                                        ; implicit-def: $sgpr34
	s_and_saveexec_b64 s[2:3], vcc
	s_xor_b64 s[2:3], exec, s[2:3]
	s_cbranch_execz .LBB0_4
; %bb.1:
	s_load_dword s34, s[0:1], 0xc
	s_load_dwordx8 s[8:15], s[4:5], 0x60
	s_load_dwordx8 s[16:23], s[4:5], 0x40
	v_lshl_add_u32 v3, v0, 2, 0
	s_mov_b64 s[30:31], 0
	s_waitcnt lgkmcnt(0)
	s_and_b32 s34, s34, 0xffff
	s_lshl_b32 s35, s34, 2
	v_mov_b32_e32 v4, s17
	v_mov_b32_e32 v5, s19
	v_mov_b32_e32 v6, s21
	v_mov_b32_e32 v7, s23
	v_mov_b32_e32 v8, s9
	v_mov_b32_e32 v9, s11
	v_mov_b32_e32 v10, s13
	v_mov_b32_e32 v11, s15
	v_mov_b32_e32 v1, v0
.LBB0_2:                                ; =>This Inner Loop Header: Depth=1
	v_ashrrev_i32_e32 v2, 31, v1
	v_lshlrev_b64 v[12:13], 2, v[1:2]
	v_add_u32_e32 v1, s34, v1
	v_add_co_u32_e32 v14, vcc, s16, v12
	v_addc_co_u32_e32 v15, vcc, v4, v13, vcc
	v_add_co_u32_e32 v16, vcc, s18, v12
	v_addc_co_u32_e32 v17, vcc, v5, v13, vcc
	;; [unrolled: 2-line block ×8, first 2 shown]
	global_load_dword v2, v[14:15], off
	global_load_dword v28, v[16:17], off
	;; [unrolled: 1-line block ×5, first 2 shown]
                                        ; kill: killed $vgpr14 killed $vgpr15
                                        ; kill: killed $vgpr18 killed $vgpr19
                                        ; kill: killed $vgpr20 killed $vgpr21
                                        ; kill: killed $vgpr22 killed $vgpr23
                                        ; kill: killed $vgpr16 killed $vgpr17
	s_nop 0
	global_load_dword v14, v[24:25], off
	global_load_dword v15, v[26:27], off
	;; [unrolled: 1-line block ×3, first 2 shown]
	v_add_u32_e32 v12, s7, v3
	v_add_u32_e32 v13, s7, v12
	;; [unrolled: 1-line block ×5, first 2 shown]
	v_cmp_lt_i32_e32 vcc, s28, v1
	v_add_u32_e32 v20, s7, v19
	s_or_b64 s[30:31], vcc, s[30:31]
	v_add_u32_e32 v21, s7, v20
	s_waitcnt vmcnt(7)
	ds_write_b32 v3, v2
	s_waitcnt vmcnt(6)
	ds_write_b32 v12, v28
	;; [unrolled: 2-line block ×8, first 2 shown]
	v_add_u32_e32 v3, s35, v3
	s_andn2_b64 exec, exec, s[30:31]
	s_cbranch_execnz .LBB0_2
; %bb.3:
	s_or_b64 exec, exec, s[30:31]
.LBB0_4:
	s_or_saveexec_b64 s[2:3], s[2:3]
	v_mov_b32_e32 v1, s34
	s_xor_b64 exec, exec, s[2:3]
	s_cbranch_execz .LBB0_6
; %bb.5:
	s_load_dword s8, s[0:1], 0xc
	s_waitcnt lgkmcnt(0)
	s_and_b32 s8, s8, 0xffff
	v_mov_b32_e32 v1, s8
.LBB0_6:
	s_or_b64 exec, exec, s[2:3]
	v_mad_u64_u32 v[11:12], s[2:3], s6, v1, v[0:1]
	s_waitcnt lgkmcnt(0)
	s_barrier
	v_cmp_gt_i32_e32 vcc, s29, v11
	s_and_saveexec_b64 s[2:3], vcc
	s_cbranch_execz .LBB0_13
; %bb.7:
	s_load_dwordx8 s[8:15], s[4:5], 0x0
	s_load_dwordx8 s[16:23], s[4:5], 0x20
	s_lshl_b32 s2, s28, 2
	s_load_dword s0, s[0:1], 0x0
	s_add_i32 s28, s2, 0
	s_lshl_b32 s2, s33, 3
	s_add_i32 s33, s2, 0
	s_add_i32 s44, s33, s7
	;; [unrolled: 1-line block ×3, first 2 shown]
	s_waitcnt lgkmcnt(0)
	v_mul_lo_u32 v14, s0, v1
	s_add_i32 s46, s45, s7
	s_add_i32 s47, s46, s7
	s_ashr_i32 s1, s27, 31
	s_mov_b32 s0, s27
	s_mov_b32 s36, 0x7ae147ae
	;; [unrolled: 1-line block ×3, first 2 shown]
	s_add_i32 s48, s47, s7
	v_mul_f32_e64 v19, s24, 0.5
	v_mul_f32_e64 v20, s25, 0.5
	;; [unrolled: 1-line block ×3, first 2 shown]
	s_lshl_b64 s[30:31], s[0:1], 3
	s_mov_b64 s[34:35], 0
	v_mov_b32_e32 v22, s19
	s_mov_b32 s19, 0xf800000
	v_mov_b32_e32 v24, 0x260
	s_mov_b32 s27, 0x3f2aaaab
	;; [unrolled: 2-line block ×3, first 2 shown]
	s_movk_i32 s50, 0x204
	s_mov_b32 s51, 0x7f800000
	s_mov_b32 s52, 0x42b17218
	;; [unrolled: 1-line block ×4, first 2 shown]
	s_brev_b32 s55, -2
	s_mov_b32 s56, 0x3e800000
	s_mov_b32 s37, 0x3fefae14
	v_mov_b32_e32 v26, 0x40234736
	v_mov_b32_e32 v27, 0xc0a55e0e
	;; [unrolled: 1-line block ×5, first 2 shown]
	s_movk_i32 s57, 0x1f8
	s_mov_b32 s58, 0x800000
	s_mov_b32 s39, 0x3f847ae1
	;; [unrolled: 1-line block ×3, first 2 shown]
	v_mov_b32_e32 v31, 0x37000000
	v_mov_b32_e32 v32, 0x7f800000
	v_mov_b32_e32 v33, 0x7fc00000
	v_mov_b32_e32 v34, 0xa341316c
	v_mov_b32_e32 v35, 0xad90777d
	v_mov_b32_e32 v36, 0x42000000
	buffer_store_dword v14, off, s[60:63], 0 offset:8 ; 4-byte Folded Spill
	buffer_store_dword v22, off, s[60:63], 0 offset:12 ; 4-byte Folded Spill
	s_branch .LBB0_9
.LBB0_8:                                ;   in Loop: Header=BB0_9 Depth=1
	s_or_b64 exec, exec, s[40:41]
	v_mov_b32_e32 v7, s9
	s_waitcnt vmcnt(1)
	v_add_co_u32_e32 v6, vcc, s8, v38
	s_waitcnt vmcnt(0)
	v_addc_co_u32_e32 v7, vcc, v7, v39, vcc
	v_mov_b32_e32 v10, s11
	v_add_co_u32_e32 v15, vcc, s10, v38
	v_addc_co_u32_e32 v16, vcc, v10, v39, vcc
	global_load_dwordx2 v[8:9], v[6:7], off
	v_mov_b32_e32 v10, s13
	v_add_co_u32_e32 v12, vcc, s12, v38
	global_load_dwordx2 v[17:18], v[15:16], off
	v_addc_co_u32_e32 v13, vcc, v10, v39, vcc
	global_load_dwordx2 v[37:38], v[12:13], off
	v_add_u32_e32 v11, v11, v14
	v_cmp_le_i32_e32 vcc, s29, v11
	s_or_b64 s[34:35], vcc, s[34:35]
	s_waitcnt vmcnt(2)
	v_add_f64 v[0:1], v[8:9], v[0:1]
	s_waitcnt vmcnt(1)
	v_add_f64 v[2:3], v[17:18], v[2:3]
	s_waitcnt vmcnt(0)
	v_add_f64 v[4:5], v[37:38], v[4:5]
	global_store_dwordx2 v[6:7], v[0:1], off
	global_store_dwordx2 v[15:16], v[2:3], off
	;; [unrolled: 1-line block ×3, first 2 shown]
	s_andn2_b64 exec, exec, s[34:35]
	s_cbranch_execz .LBB0_13
.LBB0_9:                                ; =>This Loop Header: Depth=1
                                        ;     Child Loop BB0_11 Depth 2
	v_ashrrev_i32_e32 v12, 31, v11
	v_lshlrev_b64 v[0:1], 2, v[11:12]
	v_lshlrev_b64 v[38:39], 3, v[11:12]
	v_add_co_u32_e32 v0, vcc, s18, v0
	v_addc_co_u32_e32 v1, vcc, v22, v1, vcc
	global_load_dword v37, v[0:1], off
	v_mov_b32_e32 v0, 0
	v_mov_b32_e32 v2, 0
	;; [unrolled: 1-line block ×6, first 2 shown]
	s_waitcnt vmcnt(0)
	v_cmp_lt_i32_e32 vcc, 0, v37
	s_and_saveexec_b64 s[40:41], vcc
	s_cbranch_execz .LBB0_8
; %bb.10:                               ;   in Loop: Header=BB0_9 Depth=1
	v_lshlrev_b64 v[4:5], 4, v[11:12]
	v_mov_b32_e32 v1, s17
	v_add_co_u32_e32 v0, vcc, s16, v4
	v_addc_co_u32_e32 v1, vcc, v1, v5, vcc
	v_mov_b32_e32 v6, s15
	v_add_co_u32_e32 v4, vcc, s14, v4
	v_addc_co_u32_e32 v5, vcc, v6, v5, vcc
	global_load_dwordx4 v[0:3], v[0:1], off
	v_mov_b32_e32 v12, 0
	global_load_dwordx3 v[8:10], v[4:5], off
	s_nop 0
	buffer_store_dword v38, off, s[60:63], 0 ; 4-byte Folded Spill
	s_nop 0
	buffer_store_dword v39, off, s[60:63], 0 offset:4 ; 4-byte Folded Spill
	s_mov_b64 s[42:43], 0
	s_waitcnt vmcnt(3)
	v_add_u32_e32 v40, 1, v3
	v_add_u32_e32 v41, 2, v3
	v_mov_b32_e32 v15, v38
	v_mov_b32_e32 v16, v39
	;; [unrolled: 1-line block ×4, first 2 shown]
.LBB0_11:                               ;   Parent Loop BB0_9 Depth=1
                                        ; =>  This Inner Loop Header: Depth=2
	v_add_co_u32_e32 v4, vcc, s20, v15
	v_mov_b32_e32 v5, s21
	v_addc_co_u32_e32 v5, vcc, v5, v16, vcc
	global_load_dwordx2 v[17:18], v[4:5], off
	v_mov_b32_e32 v7, s15
	v_mov_b32_e32 v61, 0xbf1f24be
	;; [unrolled: 1-line block ×4, first 2 shown]
	v_add_u32_e32 v37, -1, v37
	s_waitcnt vmcnt(0)
	v_ashrrev_i32_e32 v5, 31, v17
	v_mov_b32_e32 v4, v17
	v_lshlrev_b64 v[4:5], 4, v[4:5]
	v_lshlrev_b32_e32 v18, 2, v18
	v_add_co_u32_e32 v6, vcc, s14, v4
	v_addc_co_u32_e32 v7, vcc, v7, v5, vcc
	global_load_dwordx3 v[42:44], v[6:7], off
	v_mov_b32_e32 v7, s24
	s_waitcnt vmcnt(0)
	v_sub_f32_e32 v6, v8, v42
	v_cmp_nlt_f32_e64 s[0:1], v6, v19
	v_cmp_gt_f32_e64 vcc, v6, -v19
	v_cndmask_b32_e64 v17, 0, -v7, s[0:1]
	v_cndmask_b32_e32 v7, v7, v17, vcc
	v_add_f32_e32 v45, v6, v7
	v_sub_f32_e32 v6, v9, v43
	v_cmp_nlt_f32_e64 s[0:1], v6, v20
	v_mov_b32_e32 v7, s25
	v_cmp_gt_f32_e64 vcc, v6, -v20
	v_cndmask_b32_e64 v17, 0, -v7, s[0:1]
	v_cndmask_b32_e32 v7, v7, v17, vcc
	v_add_f32_e32 v42, v6, v7
	v_sub_f32_e32 v6, v10, v44
	v_cmp_nlt_f32_e64 s[0:1], v6, v21
	v_mov_b32_e32 v7, s26
	v_cmp_gt_f32_e64 vcc, v6, -v21
	v_cndmask_b32_e64 v17, 0, -v7, s[0:1]
	v_cndmask_b32_e32 v7, v7, v17, vcc
	v_add_f32_e32 v17, v6, v7
	v_add_co_u32_e32 v4, vcc, s16, v4
	v_mov_b32_e32 v6, s17
	v_addc_co_u32_e32 v5, vcc, v6, v5, vcc
	global_load_dwordx4 v[4:7], v[4:5], off
	s_waitcnt vmcnt(0)
	v_sub_f32_e32 v46, v0, v4
	v_sub_f32_e32 v43, v1, v5
	v_add_co_u32_e32 v4, vcc, s22, v15
	v_mov_b32_e32 v5, s23
	v_addc_co_u32_e32 v5, vcc, v5, v16, vcc
	global_load_dwordx2 v[4:5], v[4:5], off
	v_sub_f32_e32 v6, v2, v6
	s_waitcnt vmcnt(0)
	v_cvt_f32_f64_e32 v48, v[4:5]
	v_mul_f32_e32 v4, v42, v42
	v_fmac_f32_e32 v4, v45, v45
	v_fmac_f32_e32 v4, v17, v17
	v_cmp_gt_f32_e32 vcc, s19, v4
	v_mul_f32_e32 v5, 0x4f800000, v4
	v_cndmask_b32_e32 v4, v4, v5, vcc
	v_sqrt_f32_e32 v5, v4
	v_add_u32_e32 v44, -1, v5
	v_fma_f32 v47, -v44, v5, v4
	v_cmp_ge_f32_e64 s[0:1], 0, v47
	v_add_u32_e32 v47, 1, v5
	v_cndmask_b32_e64 v44, v5, v44, s[0:1]
	v_fma_f32 v5, -v47, v5, v4
	v_cmp_lt_f32_e64 s[0:1], 0, v5
	v_cndmask_b32_e64 v5, v44, v47, s[0:1]
	v_mul_f32_e32 v44, 0x37800000, v5
	v_cndmask_b32_e32 v5, v5, v44, vcc
	v_cmp_class_f32_e32 vcc, v4, v24
	v_cndmask_b32_e32 v44, v5, v4, vcc
	v_add_u32_e32 v4, s28, v18
	ds_read_b32 v5, v4 offset:4
	s_waitcnt lgkmcnt(0)
	v_div_scale_f32 v47, s[0:1], v5, v5, 1.0
	v_mul_f32_e32 v4, v5, v48
	v_cmp_eq_f32_e64 s[0:1], 1.0, v48
	v_rcp_f32_e32 v49, v47
	v_fma_f32 v50, -v47, v49, 1.0
	v_fmac_f32_e32 v49, v50, v49
	v_div_scale_f32 v50, vcc, 1.0, v5, 1.0
	v_mul_f32_e32 v51, v50, v49
	v_fma_f32 v52, -v47, v51, v50
	v_fmac_f32_e32 v51, v52, v49
	v_fma_f32 v47, -v47, v51, v50
	v_div_fmas_f32 v47, v47, v49, v51
	v_div_fixup_f32 v5, v47, v5, 1.0
	v_add_u32_e32 v47, s44, v18
	ds_read_b32 v52, v47
	v_sub_f32_e32 v50, 1.0, v5
	v_mul_f32_e32 v51, v50, v50
	v_mul_f32_e32 v50, v50, v51
	s_waitcnt lgkmcnt(0)
	v_cndmask_b32_e64 v47, v52, 1.0, s[0:1]
	v_cmp_neq_f32_e32 vcc, 0, v47
	v_cndmask_b32_e32 v49, 1.0, v48, vcc
	v_frexp_mant_f32_e64 v53, |v49|
	v_cmp_gt_f32_e32 vcc, s27, v53
	v_cndmask_b32_e64 v54, 1.0, 2.0, vcc
	v_mul_f32_e32 v53, v53, v54
	v_add_f32_e32 v55, 1.0, v53
	v_add_f32_e32 v56, -1.0, v55
	v_add_f32_e32 v54, -1.0, v53
	v_sub_f32_e32 v53, v53, v56
	v_rcp_f32_e32 v56, v55
	v_cmp_gt_f32_e64 s[4:5], 0, v49
	v_cmp_lt_f32_e64 s[6:7], |v49|, 1.0
	v_mul_f32_e32 v57, v54, v56
	v_mul_f32_e32 v58, v55, v57
	v_fma_f32 v55, v57, v55, -v58
	v_fmac_f32_e32 v55, v57, v53
	v_add_f32_e32 v53, v58, v55
	v_sub_f32_e32 v59, v54, v53
	v_sub_f32_e32 v58, v53, v58
	;; [unrolled: 1-line block ×5, first 2 shown]
	v_add_f32_e32 v53, v54, v53
	v_add_f32_e32 v53, v59, v53
	v_mul_f32_e32 v53, v56, v53
	v_add_f32_e32 v55, v57, v53
	v_sub_f32_e32 v54, v55, v57
	v_sub_f32_e32 v56, v53, v54
	v_mul_f32_e32 v53, v55, v55
	v_fma_f32 v54, v55, v55, -v53
	v_add_f32_e32 v57, v56, v56
	v_fmac_f32_e32 v54, v55, v57
	v_add_f32_e32 v57, v53, v54
	v_sub_f32_e32 v53, v57, v53
	v_sub_f32_e32 v53, v54, v53
	v_mul_f32_e32 v54, v55, v57
	v_fma_f32 v59, v57, v55, -v54
	v_fmac_f32_e32 v59, v57, v56
	v_mov_b32_e32 v58, 0x3e91f4c4
	v_fmac_f32_e32 v59, v53, v55
	v_fmac_f32_e32 v58, 0x3e76c4e1, v57
	v_add_f32_e32 v60, v54, v59
	v_fma_f32 v58, v57, v58, v25
	v_sub_f32_e32 v54, v60, v54
	v_sub_f32_e32 v54, v59, v54
	v_mul_f32_e32 v59, v57, v58
	v_fma_f32 v57, v57, v58, -v59
	v_fmac_f32_e32 v57, v53, v58
	v_add_f32_e32 v53, v59, v57
	v_add_f32_e32 v58, 0x3f2aaaaa, v53
	v_sub_f32_e32 v59, v53, v59
	v_sub_f32_e32 v57, v57, v59
	v_add_f32_e32 v59, 0xbf2aaaaa, v58
	v_add_f32_e32 v57, 0x31739010, v57
	v_sub_f32_e32 v53, v53, v59
	v_add_f32_e32 v53, v57, v53
	v_add_f32_e32 v57, v58, v53
	v_sub_f32_e32 v58, v58, v57
	v_add_f32_e32 v53, v53, v58
	v_mul_f32_e32 v58, v60, v57
	v_fma_f32 v59, v60, v57, -v58
	v_fmac_f32_e32 v59, v60, v53
	v_fmac_f32_e32 v59, v54, v57
	v_cvt_f64_f32_e64 v[53:54], |v49|
	v_ldexp_f32 v55, v55, 1
	v_frexp_exp_i32_f64_e32 v53, v[53:54]
	v_subbrev_co_u32_e32 v53, vcc, 0, v53, vcc
	v_cvt_f32_i32_e32 v53, v53
	v_mul_f32_e32 v54, 0x3f317218, v53
	v_fma_f32 v57, v53, s49, -v54
	v_fmac_f32_e32 v57, 0xb102e308, v53
	v_ldexp_f32 v53, v56, 1
	v_add_f32_e32 v56, v54, v57
	v_sub_f32_e32 v54, v56, v54
	v_sub_f32_e32 v54, v57, v54
	v_add_f32_e32 v57, v58, v59
	v_sub_f32_e32 v58, v57, v58
	v_sub_f32_e32 v58, v59, v58
	v_add_f32_e32 v59, v55, v57
	v_sub_f32_e32 v55, v59, v55
	v_sub_f32_e32 v55, v57, v55
	v_add_f32_e32 v53, v53, v58
	v_add_f32_e32 v53, v53, v55
	;; [unrolled: 1-line block ×3, first 2 shown]
	v_sub_f32_e32 v57, v55, v59
	v_sub_f32_e32 v53, v53, v57
	v_add_f32_e32 v57, v56, v55
	v_sub_f32_e32 v58, v57, v56
	v_sub_f32_e32 v59, v57, v58
	;; [unrolled: 1-line block ×4, first 2 shown]
	v_add_f32_e32 v55, v55, v56
	v_add_f32_e32 v56, v54, v53
	v_sub_f32_e32 v58, v56, v54
	v_sub_f32_e32 v59, v56, v58
	;; [unrolled: 1-line block ×4, first 2 shown]
	v_add_f32_e32 v53, v53, v54
	v_add_f32_e32 v54, v56, v55
	v_add_f32_e32 v55, v57, v54
	v_sub_f32_e32 v56, v55, v57
	v_sub_f32_e32 v54, v54, v56
	v_add_f32_e32 v53, v53, v54
	v_add_f32_e32 v54, v55, v53
	v_sub_f32_e32 v55, v54, v55
	v_sub_f32_e32 v53, v53, v55
	v_mul_f32_e32 v55, v47, v54
	v_fma_f32 v54, v47, v54, -v55
	v_fmac_f32_e32 v54, v47, v53
	v_add_f32_e32 v53, v55, v54
	v_cmp_class_f32_e64 vcc, v55, s50
	v_sub_f32_e32 v56, v53, v55
	v_cndmask_b32_e32 v53, v53, v55, vcc
	v_sub_f32_e32 v54, v54, v56
	v_cmp_neq_f32_e64 vcc, |v53|, s51
	v_cndmask_b32_e32 v54, 0, v54, vcc
	v_cmp_eq_f32_e32 vcc, s52, v53
	v_cndmask_b32_e32 v55, 0, v31, vcc
	v_sub_f32_e32 v53, v53, v55
	v_add_f32_e32 v54, v55, v54
	v_mul_f32_e32 v55, 0x3fb8aa3b, v53
	v_fma_f32 v56, v53, s53, -v55
	v_rndne_f32_e32 v57, v55
	v_fmac_f32_e32 v56, 0x32a5705f, v53
	v_sub_f32_e32 v55, v55, v57
	v_add_f32_e32 v55, v55, v56
	v_exp_f32_e32 v55, v55
	v_cvt_i32_f32_e32 v56, v57
	v_cmp_ngt_f32_e32 vcc, s54, v53
	v_ldexp_f32 v55, v55, v56
	v_cndmask_b32_e32 v55, 0, v55, vcc
	v_cmp_nlt_f32_e32 vcc, s52, v53
	v_cndmask_b32_e32 v53, v32, v55, vcc
	v_fma_f32 v54, v53, v54, v53
	v_cmp_class_f32_e64 vcc, v53, s50
	v_cndmask_b32_e32 v53, v54, v53, vcc
	v_trunc_f32_e32 v54, v47
	v_cmp_eq_f32_e32 vcc, v54, v47
	v_mul_f32_e32 v54, 0.5, v47
	v_trunc_f32_e32 v55, v54
	v_cmp_neq_f32_e64 s[2:3], v55, v54
	s_and_b64 s[2:3], vcc, s[2:3]
	v_cndmask_b32_e64 v54, 1.0, v49, s[2:3]
	v_bfi_b32 v53, s55, v53, v54
	v_cndmask_b32_e32 v54, v33, v53, vcc
	v_cndmask_b32_e64 v53, v53, v54, s[4:5]
	v_cmp_neq_f32_e64 s[4:5], v47, |v47|
	s_xor_b64 s[4:5], s[4:5], s[6:7]
	v_cndmask_b32_e64 v54, v32, 0, s[4:5]
	v_cmp_neq_f32_e64 s[4:5], |v49|, 1.0
	v_cmp_class_f32_e64 vcc, v47, s50
	v_cndmask_b32_e64 v54, 1.0, v54, s[4:5]
	v_cndmask_b32_e32 v53, v53, v54, vcc
	v_cmp_eq_f32_e32 vcc, 0, v49
	v_cmp_gt_f32_e64 s[6:7], 0, v47
	s_xor_b64 s[6:7], s[6:7], vcc
	v_cmp_class_f32_e64 s[4:5], v49, s50
	v_cndmask_b32_e64 v54, v32, 0, s[6:7]
	v_cndmask_b32_e64 v55, 0, v49, s[2:3]
	s_or_b64 s[4:5], vcc, s[4:5]
	v_bfi_b32 v54, s55, v54, v55
	v_cndmask_b32_e64 v53, v53, v54, s[4:5]
	v_cmp_o_f32_e32 vcc, v49, v47
	v_cndmask_b32_e32 v47, v33, v53, vcc
	v_div_scale_f32 v53, s[2:3], v51, v51, s56
	v_add_u32_e32 v49, 0, v18
	ds_read_b32 v49, v49
	s_waitcnt lgkmcnt(0)
	v_mul_f32_e32 v47, v49, v47
	v_rcp_f32_e32 v54, v53
	v_fma_f32 v55, -v53, v54, 1.0
	v_fmac_f32_e32 v54, v55, v54
	v_div_scale_f32 v55, vcc, s56, v51, s56
	v_mul_f32_e32 v56, v55, v54
	v_fma_f32 v57, -v53, v56, v55
	v_fmac_f32_e32 v56, v57, v54
	v_fma_f32 v53, -v53, v56, v55
	v_div_fmas_f32 v53, v53, v54, v56
	v_div_fixup_f32 v53, v53, v51, s56
	v_add_f32_e32 v54, 0xbe800000, v53
	v_add_f32_e32 v54, v5, v54
	v_mul_f32_e32 v47, v54, v47
	v_mul_f32_e32 v54, 0.5, v5
	v_div_scale_f32 v51, s[2:3], v50, v50, v54
	v_sub_f32_e32 v53, 0x3e800000, v53
	v_mul_f32_e32 v5, v4, v5
	v_rcp_f32_e32 v55, v51
	v_fma_f32 v56, -v51, v55, 1.0
	v_fmac_f32_e32 v55, v56, v55
	v_div_scale_f32 v56, vcc, v54, v50, v54
	v_mul_f32_e32 v57, v56, v55
	v_fma_f32 v58, -v51, v57, v56
	v_fmac_f32_e32 v57, v58, v55
	v_fma_f32 v51, -v51, v57, v56
	v_div_fmas_f32 v51, v51, v55, v57
	v_div_fixup_f32 v50, v51, v50, v54
	v_add_f32_e32 v50, v53, v50
	v_mul_f32_e32 v50, v49, v50
	v_div_scale_f32 v51, s[2:3], v5, v5, v50
	v_rcp_f32_e32 v53, v51
	v_fma_f32 v54, -v51, v53, 1.0
	v_fmac_f32_e32 v53, v54, v53
	v_div_scale_f32 v54, vcc, v50, v5, v50
	v_mul_f32_e32 v55, v54, v53
	v_fma_f32 v56, -v51, v55, v54
	v_fmac_f32_e32 v55, v56, v53
	v_fma_f32 v51, -v51, v55, v54
	v_div_fmas_f32 v51, v51, v53, v55
	v_div_fixup_f32 v50, v51, v5, v50
	v_add_f32_e32 v5, 1.0, v52
	v_cndmask_b32_e64 v52, v5, 1.0, s[0:1]
	v_cmp_neq_f32_e32 vcc, 0, v52
	v_cndmask_b32_e32 v48, 1.0, v48, vcc
	v_frexp_mant_f32_e64 v53, |v48|
	v_cmp_gt_f32_e32 vcc, s27, v53
	v_cndmask_b32_e64 v54, 1.0, 2.0, vcc
	v_mul_f32_e32 v53, v53, v54
	v_add_f32_e32 v55, 1.0, v53
	v_add_f32_e32 v56, -1.0, v55
	v_add_f32_e32 v54, -1.0, v53
	v_sub_f32_e32 v53, v53, v56
	v_rcp_f32_e32 v56, v55
	v_cmp_gt_f32_e64 s[2:3], 0, v48
	v_cmp_lt_f32_e64 s[4:5], |v48|, 1.0
	v_mul_f32_e32 v51, v5, v47
	v_mul_f32_e32 v57, v54, v56
	;; [unrolled: 1-line block ×3, first 2 shown]
	v_fma_f32 v55, v57, v55, -v58
	v_fmac_f32_e32 v55, v57, v53
	v_add_f32_e32 v53, v58, v55
	v_sub_f32_e32 v59, v54, v53
	v_sub_f32_e32 v58, v53, v58
	;; [unrolled: 1-line block ×5, first 2 shown]
	v_add_f32_e32 v53, v54, v53
	v_add_f32_e32 v53, v59, v53
	v_mul_f32_e32 v53, v56, v53
	v_add_f32_e32 v55, v57, v53
	v_sub_f32_e32 v54, v55, v57
	v_sub_f32_e32 v56, v53, v54
	v_mul_f32_e32 v53, v55, v55
	v_fma_f32 v54, v55, v55, -v53
	v_add_f32_e32 v57, v56, v56
	v_fmac_f32_e32 v54, v55, v57
	v_add_f32_e32 v57, v53, v54
	v_sub_f32_e32 v53, v57, v53
	v_sub_f32_e32 v53, v54, v53
	v_mul_f32_e32 v54, v55, v57
	v_fma_f32 v59, v57, v55, -v54
	v_fmac_f32_e32 v59, v57, v56
	v_mov_b32_e32 v58, 0x3e91f4c4
	v_fmac_f32_e32 v59, v53, v55
	v_fmac_f32_e32 v58, 0x3e76c4e1, v57
	v_add_f32_e32 v60, v54, v59
	v_fma_f32 v58, v57, v58, v25
	v_sub_f32_e32 v54, v60, v54
	v_sub_f32_e32 v54, v59, v54
	v_mul_f32_e32 v59, v57, v58
	v_fma_f32 v57, v57, v58, -v59
	v_fmac_f32_e32 v57, v53, v58
	v_add_f32_e32 v53, v59, v57
	v_add_f32_e32 v58, 0x3f2aaaaa, v53
	v_sub_f32_e32 v59, v53, v59
	v_sub_f32_e32 v57, v57, v59
	v_add_f32_e32 v59, 0xbf2aaaaa, v58
	v_add_f32_e32 v57, 0x31739010, v57
	v_sub_f32_e32 v53, v53, v59
	v_add_f32_e32 v53, v57, v53
	v_add_f32_e32 v57, v58, v53
	v_sub_f32_e32 v58, v58, v57
	v_add_f32_e32 v53, v53, v58
	v_mul_f32_e32 v58, v60, v57
	v_fma_f32 v59, v60, v57, -v58
	v_fmac_f32_e32 v59, v60, v53
	v_fmac_f32_e32 v59, v54, v57
	v_cvt_f64_f32_e64 v[53:54], |v48|
	v_ldexp_f32 v55, v55, 1
	v_frexp_exp_i32_f64_e32 v53, v[53:54]
	v_subbrev_co_u32_e32 v53, vcc, 0, v53, vcc
	v_cvt_f32_i32_e32 v53, v53
	v_mul_f32_e32 v54, 0x3f317218, v53
	v_fma_f32 v57, v53, s49, -v54
	v_fmac_f32_e32 v57, 0xb102e308, v53
	v_ldexp_f32 v53, v56, 1
	v_add_f32_e32 v56, v54, v57
	v_sub_f32_e32 v54, v56, v54
	v_sub_f32_e32 v54, v57, v54
	v_add_f32_e32 v57, v58, v59
	v_sub_f32_e32 v58, v57, v58
	v_sub_f32_e32 v58, v59, v58
	;; [unrolled: 3-line block ×3, first 2 shown]
	v_add_f32_e32 v53, v53, v58
	v_add_f32_e32 v53, v53, v55
	;; [unrolled: 1-line block ×3, first 2 shown]
	v_sub_f32_e32 v57, v55, v59
	v_sub_f32_e32 v53, v53, v57
	v_add_f32_e32 v57, v56, v55
	v_sub_f32_e32 v58, v57, v56
	v_sub_f32_e32 v59, v57, v58
	;; [unrolled: 1-line block ×4, first 2 shown]
	v_add_f32_e32 v55, v55, v56
	v_add_f32_e32 v56, v54, v53
	v_sub_f32_e32 v58, v56, v54
	v_sub_f32_e32 v59, v56, v58
	;; [unrolled: 1-line block ×4, first 2 shown]
	v_add_f32_e32 v53, v53, v54
	v_add_f32_e32 v54, v56, v55
	;; [unrolled: 1-line block ×3, first 2 shown]
	v_sub_f32_e32 v56, v55, v57
	v_sub_f32_e32 v54, v54, v56
	v_add_f32_e32 v53, v53, v54
	v_add_f32_e32 v54, v55, v53
	v_sub_f32_e32 v55, v54, v55
	v_sub_f32_e32 v53, v53, v55
	v_mul_f32_e32 v55, v52, v54
	v_fma_f32 v54, v52, v54, -v55
	v_fmac_f32_e32 v54, v52, v53
	v_add_f32_e32 v53, v55, v54
	v_cmp_class_f32_e64 vcc, v55, s50
	v_sub_f32_e32 v56, v53, v55
	v_cndmask_b32_e32 v53, v53, v55, vcc
	v_sub_f32_e32 v54, v54, v56
	v_cmp_neq_f32_e64 vcc, |v53|, s51
	v_cndmask_b32_e32 v54, 0, v54, vcc
	v_cmp_eq_f32_e32 vcc, s52, v53
	v_cndmask_b32_e32 v55, 0, v31, vcc
	v_sub_f32_e32 v53, v53, v55
	v_add_f32_e32 v54, v55, v54
	v_mul_f32_e32 v55, 0x3fb8aa3b, v53
	v_fma_f32 v56, v53, s53, -v55
	v_rndne_f32_e32 v57, v55
	v_fmac_f32_e32 v56, 0x32a5705f, v53
	v_sub_f32_e32 v55, v55, v57
	v_add_f32_e32 v55, v55, v56
	v_exp_f32_e32 v55, v55
	v_cvt_i32_f32_e32 v56, v57
	v_cmp_ngt_f32_e32 vcc, s54, v53
	v_mov_b32_e32 v59, 0xbf1f24be
	v_ldexp_f32 v55, v55, v56
	v_cndmask_b32_e32 v55, 0, v55, vcc
	v_cmp_nlt_f32_e32 vcc, s52, v53
	v_cndmask_b32_e32 v53, v32, v55, vcc
	v_fma_f32 v54, v53, v54, v53
	v_cmp_class_f32_e64 vcc, v53, s50
	v_cndmask_b32_e32 v53, v54, v53, vcc
	v_trunc_f32_e32 v54, v52
	v_cmp_eq_f32_e32 vcc, v54, v52
	v_mul_f32_e32 v54, 0.5, v52
	v_trunc_f32_e32 v55, v54
	v_cmp_neq_f32_e64 s[0:1], v55, v54
	s_and_b64 s[0:1], vcc, s[0:1]
	v_cndmask_b32_e64 v54, 1.0, v48, s[0:1]
	v_bfi_b32 v53, s55, v53, v54
	v_cndmask_b32_e32 v54, v33, v53, vcc
	v_cndmask_b32_e64 v53, v53, v54, s[2:3]
	v_cmp_neq_f32_e64 s[2:3], v52, |v52|
	s_xor_b64 s[2:3], s[2:3], s[4:5]
	v_cndmask_b32_e64 v54, v32, 0, s[2:3]
	v_cmp_neq_f32_e64 s[2:3], |v48|, 1.0
	v_cmp_class_f32_e64 vcc, v52, s50
	v_cndmask_b32_e64 v54, 1.0, v54, s[2:3]
	v_cndmask_b32_e32 v53, v53, v54, vcc
	v_cmp_eq_f32_e32 vcc, 0, v48
	v_cmp_gt_f32_e64 s[4:5], 0, v52
	s_xor_b64 s[4:5], s[4:5], vcc
	v_cmp_class_f32_e64 s[2:3], v48, s50
	v_cndmask_b32_e64 v54, v32, 0, s[4:5]
	v_cndmask_b32_e64 v55, 0, v48, s[0:1]
	s_or_b64 s[2:3], vcc, s[2:3]
	v_bfi_b32 v54, s55, v54, v55
	v_cndmask_b32_e64 v53, v53, v54, s[2:3]
	v_cmp_o_f32_e32 vcc, v48, v52
	v_cndmask_b32_e32 v48, v33, v53, vcc
	v_div_scale_f32 v52, s[0:1], v48, v48, v51
	v_rcp_f32_e32 v53, v52
	v_fma_f32 v54, -v52, v53, 1.0
	v_fmac_f32_e32 v53, v54, v53
	v_div_scale_f32 v54, vcc, v51, v48, v51
	v_mul_f32_e32 v55, v54, v53
	v_fma_f32 v56, -v52, v55, v54
	v_fmac_f32_e32 v55, v56, v53
	v_fma_f32 v52, -v52, v55, v54
	v_div_fmas_f32 v52, v52, v53, v55
	v_div_fixup_f32 v48, v52, v48, v51
	v_add_f32_e32 v48, v50, v48
	v_add_u32_e32 v50, s33, v18
	ds_read_b32 v50, v50
	v_mul_f32_e32 v48, 0x3eddb22d, v48
	s_waitcnt lgkmcnt(0)
	v_div_scale_f32 v51, s[0:1], v50, v50, v48
	v_rcp_f32_e32 v52, v51
	v_fma_f32 v53, -v51, v52, 1.0
	v_fmac_f32_e32 v52, v53, v52
	v_div_scale_f32 v53, vcc, v48, v50, v48
	v_mul_f32_e32 v54, v53, v52
	v_fma_f32 v55, -v51, v54, v53
	v_fmac_f32_e32 v54, v55, v52
	v_fma_f32 v51, -v51, v54, v53
	v_div_fmas_f32 v51, v51, v52, v54
	v_div_fixup_f32 v50, v51, v50, v48
	v_div_scale_f32 v48, s[0:1], v4, v4, v44
	v_rcp_f32_e32 v51, v48
	v_fma_f32 v52, -v48, v51, 1.0
	v_fmac_f32_e32 v51, v52, v51
	v_div_scale_f32 v52, vcc, v44, v4, v44
	v_mul_f32_e32 v53, v52, v51
	v_fma_f32 v54, -v48, v53, v52
	v_fmac_f32_e32 v53, v54, v51
	v_fma_f32 v48, -v48, v53, v52
	v_div_fmas_f32 v48, v48, v51, v53
	v_cmp_neq_f32_e32 vcc, 1.0, v44
	v_div_fixup_f32 v48, v48, v4, v44
	v_cndmask_b32_e32 v4, 1.0, v5, vcc
	v_cmp_neq_f32_e32 vcc, 0, v4
	v_cndmask_b32_e32 v5, 1.0, v44, vcc
	v_frexp_mant_f32_e64 v51, |v5|
	v_cmp_gt_f32_e32 vcc, s27, v51
	v_cndmask_b32_e64 v52, 1.0, 2.0, vcc
	v_mul_f32_e32 v51, v51, v52
	v_add_f32_e32 v53, 1.0, v51
	v_add_f32_e32 v54, -1.0, v53
	v_add_f32_e32 v52, -1.0, v51
	v_sub_f32_e32 v51, v51, v54
	v_rcp_f32_e32 v54, v53
	v_cmp_neq_f32_e64 s[2:3], v4, |v4|
	v_cmp_lt_f32_e64 s[4:5], |v5|, 1.0
	s_xor_b64 s[2:3], s[2:3], s[4:5]
	v_mul_f32_e32 v55, v52, v54
	v_mul_f32_e32 v56, v53, v55
	v_fma_f32 v53, v55, v53, -v56
	v_fmac_f32_e32 v53, v55, v51
	v_add_f32_e32 v51, v56, v53
	v_sub_f32_e32 v57, v52, v51
	v_sub_f32_e32 v56, v51, v56
	;; [unrolled: 1-line block ×5, first 2 shown]
	v_add_f32_e32 v51, v52, v51
	v_add_f32_e32 v51, v57, v51
	v_mul_f32_e32 v51, v54, v51
	v_add_f32_e32 v53, v55, v51
	v_sub_f32_e32 v52, v53, v55
	v_sub_f32_e32 v54, v51, v52
	v_mul_f32_e32 v51, v53, v53
	v_fma_f32 v52, v53, v53, -v51
	v_add_f32_e32 v55, v54, v54
	v_fmac_f32_e32 v52, v53, v55
	v_add_f32_e32 v55, v51, v52
	v_sub_f32_e32 v51, v55, v51
	v_sub_f32_e32 v51, v52, v51
	v_mul_f32_e32 v52, v53, v55
	v_fma_f32 v57, v55, v53, -v52
	v_fmac_f32_e32 v57, v55, v54
	v_mov_b32_e32 v56, 0x3e91f4c4
	v_fmac_f32_e32 v57, v51, v53
	v_fmac_f32_e32 v56, 0x3e76c4e1, v55
	v_add_f32_e32 v58, v52, v57
	v_fma_f32 v56, v55, v56, v25
	v_sub_f32_e32 v52, v58, v52
	v_sub_f32_e32 v52, v57, v52
	v_mul_f32_e32 v57, v55, v56
	v_fma_f32 v55, v55, v56, -v57
	v_fmac_f32_e32 v55, v51, v56
	v_add_f32_e32 v51, v57, v55
	v_add_f32_e32 v56, 0x3f2aaaaa, v51
	v_sub_f32_e32 v57, v51, v57
	v_sub_f32_e32 v55, v55, v57
	v_add_f32_e32 v57, 0xbf2aaaaa, v56
	v_add_f32_e32 v55, 0x31739010, v55
	v_sub_f32_e32 v51, v51, v57
	v_add_f32_e32 v51, v55, v51
	v_add_f32_e32 v55, v56, v51
	v_sub_f32_e32 v56, v56, v55
	v_add_f32_e32 v51, v51, v56
	v_mul_f32_e32 v56, v58, v55
	v_fma_f32 v57, v58, v55, -v56
	v_fmac_f32_e32 v57, v58, v51
	v_fmac_f32_e32 v57, v52, v55
	v_cvt_f64_f32_e64 v[51:52], |v5|
	v_ldexp_f32 v53, v53, 1
	v_cmp_gt_f32_e64 s[4:5], 0, v4
	v_frexp_exp_i32_f64_e32 v51, v[51:52]
	v_subbrev_co_u32_e32 v51, vcc, 0, v51, vcc
	v_cvt_f32_i32_e32 v51, v51
	v_mul_f32_e32 v52, 0x3f317218, v51
	v_fma_f32 v55, v51, s49, -v52
	v_fmac_f32_e32 v55, 0xb102e308, v51
	v_ldexp_f32 v51, v54, 1
	v_add_f32_e32 v54, v52, v55
	v_sub_f32_e32 v52, v54, v52
	v_sub_f32_e32 v52, v55, v52
	v_add_f32_e32 v55, v56, v57
	v_sub_f32_e32 v56, v55, v56
	v_sub_f32_e32 v56, v57, v56
	;; [unrolled: 3-line block ×3, first 2 shown]
	v_add_f32_e32 v51, v51, v56
	v_add_f32_e32 v51, v51, v53
	;; [unrolled: 1-line block ×3, first 2 shown]
	v_sub_f32_e32 v55, v53, v57
	v_sub_f32_e32 v51, v51, v55
	v_add_f32_e32 v55, v54, v53
	v_sub_f32_e32 v56, v55, v54
	v_sub_f32_e32 v57, v55, v56
	;; [unrolled: 1-line block ×4, first 2 shown]
	v_add_f32_e32 v53, v53, v54
	v_add_f32_e32 v54, v52, v51
	v_sub_f32_e32 v56, v54, v52
	v_sub_f32_e32 v57, v54, v56
	;; [unrolled: 1-line block ×4, first 2 shown]
	v_add_f32_e32 v51, v51, v52
	v_add_f32_e32 v52, v54, v53
	;; [unrolled: 1-line block ×3, first 2 shown]
	v_sub_f32_e32 v54, v53, v55
	v_sub_f32_e32 v52, v52, v54
	v_add_f32_e32 v51, v51, v52
	v_add_f32_e32 v52, v53, v51
	v_sub_f32_e32 v53, v52, v53
	v_sub_f32_e32 v51, v51, v53
	v_mul_f32_e32 v53, v4, v52
	v_fma_f32 v52, v4, v52, -v53
	v_fmac_f32_e32 v52, v4, v51
	v_add_f32_e32 v51, v53, v52
	v_cmp_class_f32_e64 vcc, v53, s50
	v_sub_f32_e32 v54, v51, v53
	v_cndmask_b32_e32 v51, v51, v53, vcc
	v_sub_f32_e32 v52, v52, v54
	v_cmp_neq_f32_e64 vcc, |v51|, s51
	v_cndmask_b32_e32 v52, 0, v52, vcc
	v_cmp_eq_f32_e32 vcc, s52, v51
	v_cndmask_b32_e32 v53, 0, v31, vcc
	v_sub_f32_e32 v51, v51, v53
	v_add_f32_e32 v52, v53, v52
	v_mul_f32_e32 v53, 0x3fb8aa3b, v51
	v_fma_f32 v54, v51, s53, -v53
	v_rndne_f32_e32 v55, v53
	v_fmac_f32_e32 v54, 0x32a5705f, v51
	v_sub_f32_e32 v53, v53, v55
	v_add_f32_e32 v53, v53, v54
	v_exp_f32_e32 v53, v53
	v_cvt_i32_f32_e32 v54, v55
	v_cmp_ngt_f32_e32 vcc, s54, v51
	v_ldexp_f32 v53, v53, v54
	v_cndmask_b32_e32 v53, 0, v53, vcc
	v_cmp_nlt_f32_e32 vcc, s52, v51
	v_cndmask_b32_e32 v51, v32, v53, vcc
	v_fma_f32 v52, v51, v52, v51
	v_cmp_class_f32_e64 vcc, v51, s50
	v_cndmask_b32_e32 v51, v52, v51, vcc
	v_trunc_f32_e32 v52, v4
	v_cmp_eq_f32_e32 vcc, v52, v4
	v_mul_f32_e32 v52, 0.5, v4
	v_trunc_f32_e32 v53, v52
	v_cmp_neq_f32_e64 s[0:1], v53, v52
	s_and_b64 vcc, vcc, s[0:1]
	v_cndmask_b32_e32 v52, 1.0, v5, vcc
	v_bfi_b32 v51, s55, v51, v52
	v_cndmask_b32_e64 v52, v32, 0, s[2:3]
	v_cmp_neq_f32_e64 s[2:3], |v5|, 1.0
	v_cmp_class_f32_e64 s[0:1], v4, s50
	v_cndmask_b32_e64 v52, 1.0, v52, s[2:3]
	v_cndmask_b32_e64 v51, v51, v52, s[0:1]
	v_cmp_class_f32_e64 s[2:3], v5, s50
	v_cmp_eq_f32_e64 s[0:1], 0, v5
	v_min_i32_e32 v54, v3, v7
	s_or_b64 s[2:3], s[0:1], s[2:3]
	s_xor_b64 s[0:1], s[4:5], s[0:1]
	v_lshl_add_u32 v55, v54, 4, v34
	v_add_u32_e32 v56, 0x9e3779b9, v54
	v_cndmask_b32_e64 v52, v32, 0, s[0:1]
	v_cndmask_b32_e32 v53, 0, v5, vcc
	v_xor_b32_e32 v55, v55, v56
	v_lshrrev_b32_e32 v56, 5, v54
	v_bfi_b32 v52, s55, v52, v53
	v_max_i32_e32 v53, v3, v7
	v_add_u32_e32 v56, 0xc8013ea4, v56
	v_xad_u32 v53, v55, v56, v53
	v_lshl_add_u32 v55, v53, 4, v35
	v_add_u32_e32 v56, 0x9e3779b9, v53
	v_xor_b32_e32 v55, v55, v56
	v_lshrrev_b32_e32 v56, 5, v53
	v_add_u32_e32 v56, 0x7e95761e, v56
	v_xad_u32 v54, v55, v56, v54
	v_lshl_add_u32 v55, v54, 4, v34
	v_add_u32_e32 v56, 0x3c6ef372, v54
	v_xor_b32_e32 v55, v55, v56
	v_lshrrev_b32_e32 v56, 5, v54
	;; [unrolled: 6-line block ×7, first 2 shown]
	v_cvt_f32_i32_e32 v53, v53
	v_add_u32_e32 v56, 0x7e95761e, v56
	v_xad_u32 v54, v55, v56, v54
	v_cndmask_b32_e64 v51, v51, v52, s[2:3]
	v_mul_f32_e32 v53, 0x30000000, v53
	v_mul_f32_e64 v56, |v53|, 0.5
	v_fract_f32_e32 v57, v56
	v_add_f32_e32 v57, v57, v57
	v_cmp_neq_f32_e64 s[2:3], s51, v56
	v_cndmask_b32_e64 v56, 0, v57, s[2:3]
	v_cmp_gt_f32_e64 s[2:3], |v53|, 1.0
	v_cndmask_b32_e64 v56, |v53|, v56, s[2:3]
	v_add_f32_e32 v57, v56, v56
	v_rndne_f32_e32 v57, v57
	v_fmac_f32_e32 v56, -0.5, v57
	v_mul_f32_e32 v58, v56, v56
	v_fmac_f32_e32 v59, 0x3e75aa41, v58
	v_fma_f32 v59, v58, v59, v26
	v_fma_f32 v59, v58, v59, v27
	v_mul_f32_e32 v60, v56, v58
	v_mul_f32_e32 v59, v60, v59
	v_fmac_f32_e32 v59, 0x40490fdb, v56
	v_mov_b32_e32 v56, 0x3e642e9d
	v_cvt_i32_f32_e32 v57, v57
	v_fmac_f32_e32 v56, 0x3d4be544, v58
	v_fma_f32 v56, v58, v56, v28
	v_fma_f32 v56, v58, v56, v29
	;; [unrolled: 1-line block ×3, first 2 shown]
	v_cvt_f32_u32_e32 v54, v54
	v_and_b32_e32 v55, 0x7fffffff, v53
	v_fma_f32 v56, v58, v56, 1.0
	v_and_b32_e32 v58, 1, v57
	v_lshlrev_b32_e32 v57, 30, v57
	v_cmp_eq_u32_e64 s[2:3], 0, v58
	v_and_b32_e32 v57, 0x80000000, v57
	v_xor_b32_e32 v55, v55, v53
	v_cndmask_b32_e64 v56, v56, v59, s[2:3]
	v_xor_b32_e32 v55, v55, v57
	v_xor_b32_e32 v55, v55, v56
	v_cmp_class_f32_e64 s[2:3], v53, s57
	v_mul_f32_e32 v54, 0x2f800000, v54
	v_cndmask_b32_e64 v53, v33, v55, s[2:3]
	v_cmp_gt_f32_e64 s[2:3], s58, v54
	v_cndmask_b32_e64 v55, 0, 32, s[2:3]
	v_ldexp_f32 v54, v54, v55
	v_log_f32_e32 v54, v54
	v_cndmask_b32_e64 v55, 0, v36, s[2:3]
	v_cmp_o_f32_e32 vcc, v5, v4
	v_cndmask_b32_e32 v51, v33, v51, vcc
	v_sub_f32_e32 v54, v54, v55
	v_mul_f32_e32 v54, 0xbfb17218, v54
	v_cmp_gt_f32_e64 s[2:3], s19, v54
	v_mul_f32_e32 v55, 0x4f800000, v54
	v_cndmask_b32_e64 v54, v54, v55, s[2:3]
	v_sqrt_f32_e32 v55, v54
	v_cmp_gt_i32_e32 vcc, v3, v7
	v_mul_f32_e32 v52, v43, v42
	v_fmac_f32_e32 v52, v46, v45
	v_add_u32_e32 v56, -1, v55
	v_fma_f32 v57, -v56, v55, v54
	v_cmp_ge_f32_e64 s[4:5], 0, v57
	v_add_u32_e32 v57, 1, v55
	v_cndmask_b32_e64 v56, v55, v56, s[4:5]
	v_fma_f32 v55, -v57, v55, v54
	v_cmp_lt_f32_e64 s[4:5], 0, v55
	v_cndmask_b32_e64 v55, v56, v57, s[4:5]
	v_mul_f32_e32 v56, 0x37800000, v55
	v_cndmask_b32_e64 v55, v55, v56, s[2:3]
	v_cmp_class_f32_e64 s[2:3], v54, v24
	v_add_u32_e32 v56, 1, v7
	v_cndmask_b32_e64 v54, v55, v54, s[2:3]
	v_cndmask_b32_e32 v55, v3, v56, vcc
	v_lshl_add_u32 v57, v55, 4, v34
	v_add_u32_e32 v58, 0x9e3779b9, v55
	v_xor_b32_e32 v57, v57, v58
	v_lshrrev_b32_e32 v58, 5, v55
	v_mul_f32_e32 v53, v54, v53
	v_max_i32_e32 v54, v3, v56
	v_add_u32_e32 v58, 0xc8013ea4, v58
	v_xad_u32 v54, v57, v58, v54
	v_lshl_add_u32 v57, v54, 4, v35
	v_add_u32_e32 v58, 0x9e3779b9, v54
	v_xor_b32_e32 v57, v57, v58
	v_lshrrev_b32_e32 v58, 5, v54
	v_add_u32_e32 v58, 0x7e95761e, v58
	v_xad_u32 v55, v57, v58, v55
	v_lshl_add_u32 v57, v55, 4, v34
	v_add_u32_e32 v58, 0x3c6ef372, v55
	v_xor_b32_e32 v57, v57, v58
	v_lshrrev_b32_e32 v58, 5, v55
	;; [unrolled: 6-line block ×7, first 2 shown]
	v_cvt_f32_i32_e32 v54, v54
	v_add_u32_e32 v58, 0x7e95761e, v58
	v_xad_u32 v55, v57, v58, v55
	v_cvt_f32_u32_e32 v55, v55
	v_mul_f32_e32 v54, 0x30000000, v54
	v_mul_f32_e64 v58, |v54|, 0.5
	v_fract_f32_e32 v59, v58
	v_add_f32_e32 v59, v59, v59
	v_cmp_neq_f32_e64 s[2:3], s51, v58
	v_cndmask_b32_e64 v58, 0, v59, s[2:3]
	v_cmp_gt_f32_e64 s[2:3], |v54|, 1.0
	v_cndmask_b32_e64 v58, |v54|, v58, s[2:3]
	v_add_f32_e32 v59, v58, v58
	v_rndne_f32_e32 v59, v59
	v_fmac_f32_e32 v58, -0.5, v59
	v_mul_f32_e32 v60, v58, v58
	v_fmac_f32_e32 v61, 0x3e75aa41, v60
	v_fma_f32 v61, v60, v61, v26
	v_fma_f32 v61, v60, v61, v27
	v_mul_f32_e32 v62, v58, v60
	v_mul_f32_e32 v61, v62, v61
	v_fmac_f32_e32 v61, 0x40490fdb, v58
	v_mov_b32_e32 v58, 0x3e642e9d
	v_cvt_i32_f32_e32 v59, v59
	v_fmac_f32_e32 v58, 0x3d4be544, v60
	v_fma_f32 v58, v60, v58, v28
	v_fma_f32 v58, v60, v58, v29
	;; [unrolled: 1-line block ×3, first 2 shown]
	v_and_b32_e32 v57, 0x7fffffff, v54
	v_fma_f32 v58, v60, v58, 1.0
	v_and_b32_e32 v60, 1, v59
	v_lshlrev_b32_e32 v59, 30, v59
	v_cmp_eq_u32_e64 s[2:3], 0, v60
	v_and_b32_e32 v59, 0x80000000, v59
	v_xor_b32_e32 v57, v57, v54
	v_cndmask_b32_e64 v58, v58, v61, s[2:3]
	v_xor_b32_e32 v57, v57, v59
	v_xor_b32_e32 v57, v57, v58
	v_cmp_class_f32_e64 s[2:3], v54, s57
	v_mul_f32_e32 v55, 0x2f800000, v55
	v_cndmask_b32_e64 v54, v33, v57, s[2:3]
	v_cmp_gt_f32_e64 s[2:3], s58, v55
	v_cndmask_b32_e64 v57, 0, 32, s[2:3]
	v_ldexp_f32 v55, v55, v57
	v_log_f32_e32 v55, v55
	v_cndmask_b32_e64 v57, 0, v36, s[2:3]
	v_fmac_f32_e32 v52, v6, v17
	v_cvt_f64_f32_e32 v[4:5], v48
	v_sub_f32_e32 v55, v55, v57
	v_mul_f32_e32 v55, 0xbfb17218, v55
	v_cmp_gt_f32_e64 s[2:3], s19, v55
	v_mul_f32_e32 v57, 0x4f800000, v55
	v_cndmask_b32_e64 v55, v55, v57, s[2:3]
	v_sqrt_f32_e32 v57, v55
	v_cmp_nle_f64_e64 s[0:1], s[36:37], v[4:5]
	v_cvt_f64_f32_e32 v[4:5], v51
	v_min_f32_e32 v53, 4.0, v53
	v_add_u32_e32 v58, -1, v57
	v_fma_f32 v59, -v58, v57, v55
	v_cmp_ge_f32_e64 s[4:5], 0, v59
	v_add_u32_e32 v59, 1, v57
	v_cndmask_b32_e64 v58, v57, v58, s[4:5]
	v_fma_f32 v57, -v59, v57, v55
	v_cmp_lt_f32_e64 s[4:5], 0, v57
	v_cndmask_b32_e64 v57, v58, v59, s[4:5]
	v_mul_f32_e32 v58, 0x37800000, v57
	v_cndmask_b32_e64 v57, v57, v58, s[2:3]
	v_cmp_class_f32_e64 s[2:3], v55, v24
	v_cndmask_b32_e64 v55, v57, v55, s[2:3]
	v_add_u32_e32 v57, 2, v7
	v_cndmask_b32_e32 v58, v3, v57, vcc
	v_lshl_add_u32 v59, v58, 4, v34
	v_add_u32_e32 v60, 0x9e3779b9, v58
	v_xor_b32_e32 v59, v59, v60
	v_lshrrev_b32_e32 v60, 5, v58
	v_mul_f32_e32 v54, v55, v54
	v_cndmask_b32_e32 v55, v57, v3, vcc
	v_add_u32_e32 v60, 0xc8013ea4, v60
	v_xad_u32 v55, v59, v60, v55
	v_lshl_add_u32 v59, v55, 4, v35
	v_add_u32_e32 v60, 0x9e3779b9, v55
	v_xor_b32_e32 v59, v59, v60
	v_lshrrev_b32_e32 v60, 5, v55
	v_add_u32_e32 v60, 0x7e95761e, v60
	v_xad_u32 v58, v59, v60, v58
	v_lshl_add_u32 v59, v58, 4, v34
	v_add_u32_e32 v60, 0x3c6ef372, v58
	v_xor_b32_e32 v59, v59, v60
	v_lshrrev_b32_e32 v60, 5, v58
	;; [unrolled: 6-line block ×7, first 2 shown]
	v_cvt_f32_i32_e32 v55, v55
	v_add_u32_e32 v60, 0x7e95761e, v60
	v_xad_u32 v58, v59, v60, v58
	v_max_f32_e32 v53, -4.0, v53
	v_mul_f32_e32 v55, 0x30000000, v55
	v_mul_f32_e64 v60, |v55|, 0.5
	v_fract_f32_e32 v61, v60
	v_add_f32_e32 v61, v61, v61
	v_cmp_neq_f32_e64 s[2:3], s51, v60
	v_cndmask_b32_e64 v60, 0, v61, s[2:3]
	v_cmp_gt_f32_e64 s[2:3], |v55|, 1.0
	v_cndmask_b32_e64 v60, |v55|, v60, s[2:3]
	v_add_f32_e32 v61, v60, v60
	v_rndne_f32_e32 v61, v61
	v_fmac_f32_e32 v60, -0.5, v61
	v_mul_f32_e32 v62, v60, v60
	v_fmac_f32_e32 v63, 0x3e75aa41, v62
	v_fma_f32 v63, v62, v63, v26
	v_fma_f32 v63, v62, v63, v27
	v_mul_f32_e32 v22, v60, v62
	v_mul_f32_e32 v22, v22, v63
	v_fmac_f32_e32 v22, 0x40490fdb, v60
	v_mov_b32_e32 v60, 0x3e642e9d
	v_cvt_i32_f32_e32 v61, v61
	v_fmac_f32_e32 v60, 0x3d4be544, v62
	v_fma_f32 v60, v62, v60, v28
	v_fma_f32 v60, v62, v60, v29
	;; [unrolled: 1-line block ×3, first 2 shown]
	v_fma_f32 v60, v62, v60, 1.0
	v_and_b32_e32 v62, 1, v61
	v_and_b32_e32 v59, 0x7fffffff, v55
	v_cmp_eq_u32_e64 s[2:3], 0, v62
	v_cndmask_b32_e64 v22, v60, v22, s[2:3]
	v_xor_b32_e32 v59, v59, v55
	v_cmp_class_f32_e64 s[2:3], v55, s57
	v_cvt_f32_u32_e32 v55, v58
	v_lshlrev_b32_e32 v60, 30, v61
	v_and_b32_e32 v60, 0x80000000, v60
	v_xor_b32_e32 v59, v59, v60
	v_xor_b32_e32 v22, v59, v22
	v_mul_f32_e32 v55, 0x2f800000, v55
	v_cndmask_b32_e64 v22, v33, v22, s[2:3]
	v_cmp_gt_f32_e64 s[2:3], s58, v55
	v_cndmask_b32_e64 v58, 0, 32, s[2:3]
	v_ldexp_f32 v55, v55, v58
	v_log_f32_e32 v55, v55
	v_cndmask_b32_e64 v58, 0, v36, s[2:3]
	v_mov_b32_e32 v63, 0xbf1f24be
	v_min_f32_e32 v54, 4.0, v54
	v_sub_f32_e32 v55, v55, v58
	v_mul_f32_e32 v55, 0xbfb17218, v55
	v_cmp_gt_f32_e64 s[2:3], s19, v55
	v_mul_f32_e32 v58, 0x4f800000, v55
	v_cndmask_b32_e64 v55, v55, v58, s[2:3]
	v_sqrt_f32_e32 v58, v55
	v_max_f32_e32 v54, -4.0, v54
	v_add_u32_e32 v59, -1, v58
	v_fma_f32 v60, -v59, v58, v55
	v_cmp_ge_f32_e64 s[4:5], 0, v60
	v_add_u32_e32 v60, 1, v58
	v_cndmask_b32_e64 v59, v58, v59, s[4:5]
	v_fma_f32 v58, -v60, v58, v55
	v_cmp_lt_f32_e64 s[4:5], 0, v58
	v_cndmask_b32_e64 v58, v59, v60, s[4:5]
	v_mul_f32_e32 v59, 0x37800000, v58
	v_cndmask_b32_e64 v58, v58, v59, s[2:3]
	v_cmp_class_f32_e64 s[2:3], v55, v24
	v_cndmask_b32_e64 v55, v58, v55, s[2:3]
	v_cndmask_b32_e32 v58, v40, v7, vcc
	v_mul_f32_e32 v22, v55, v22
	v_lshl_add_u32 v59, v58, 4, v34
	v_add_u32_e32 v60, 0x9e3779b9, v58
	v_min_f32_e32 v22, 4.0, v22
	v_xor_b32_e32 v59, v59, v60
	v_lshrrev_b32_e32 v60, 5, v58
	v_max_f32_e32 v55, -4.0, v22
	v_cndmask_b32_e32 v22, v7, v40, vcc
	v_add_u32_e32 v60, 0xc8013ea4, v60
	v_xad_u32 v22, v59, v60, v22
	v_lshl_add_u32 v59, v22, 4, v35
	v_add_u32_e32 v60, 0x9e3779b9, v22
	v_xor_b32_e32 v59, v59, v60
	v_lshrrev_b32_e32 v60, 5, v22
	v_add_u32_e32 v60, 0x7e95761e, v60
	v_xad_u32 v58, v59, v60, v58
	v_lshl_add_u32 v59, v58, 4, v34
	v_add_u32_e32 v60, 0x3c6ef372, v58
	v_xor_b32_e32 v59, v59, v60
	v_lshrrev_b32_e32 v60, 5, v58
	;; [unrolled: 6-line block ×7, first 2 shown]
	v_cvt_f32_i32_e32 v22, v22
	v_add_u32_e32 v60, 0x7e95761e, v60
	v_xad_u32 v58, v59, v60, v58
	v_mul_f32_e32 v22, 0x30000000, v22
	v_mul_f32_e64 v60, |v22|, 0.5
	v_fract_f32_e32 v61, v60
	v_add_f32_e32 v61, v61, v61
	v_cmp_neq_f32_e64 s[2:3], s51, v60
	v_cndmask_b32_e64 v60, 0, v61, s[2:3]
	v_cmp_gt_f32_e64 s[2:3], |v22|, 1.0
	v_cndmask_b32_e64 v60, |v22|, v60, s[2:3]
	v_add_f32_e32 v61, v60, v60
	v_rndne_f32_e32 v61, v61
	v_fmac_f32_e32 v60, -0.5, v61
	v_mul_f32_e32 v62, v60, v60
	v_fmac_f32_e32 v63, 0x3e75aa41, v62
	v_fma_f32 v63, v62, v63, v26
	v_fma_f32 v63, v62, v63, v27
	v_mul_f32_e32 v23, v60, v62
	v_mul_f32_e32 v23, v23, v63
	v_fmac_f32_e32 v23, 0x40490fdb, v60
	v_mov_b32_e32 v60, 0x3e642e9d
	v_cvt_i32_f32_e32 v61, v61
	v_fmac_f32_e32 v60, 0x3d4be544, v62
	v_fma_f32 v60, v62, v60, v28
	v_fma_f32 v60, v62, v60, v29
	;; [unrolled: 1-line block ×3, first 2 shown]
	v_fma_f32 v60, v62, v60, 1.0
	v_and_b32_e32 v62, 1, v61
	v_cmp_eq_u32_e64 s[2:3], 0, v62
	v_and_b32_e32 v59, 0x7fffffff, v22
	v_cndmask_b32_e64 v23, v60, v23, s[2:3]
	v_lshlrev_b32_e32 v60, 30, v61
	v_and_b32_e32 v60, 0x80000000, v60
	v_xor_b32_e32 v59, v59, v22
	v_xor_b32_e32 v59, v59, v60
	;; [unrolled: 1-line block ×3, first 2 shown]
	v_cmp_class_f32_e64 s[2:3], v22, s57
	v_cndmask_b32_e64 v22, v33, v23, s[2:3]
	v_cvt_f32_u32_e32 v23, v58
	v_mov_b32_e32 v63, 0xbf1f24be
	v_mul_f32_e32 v23, 0x2f800000, v23
	v_cmp_gt_f32_e64 s[2:3], s58, v23
	v_cndmask_b32_e64 v58, 0, 32, s[2:3]
	v_ldexp_f32 v23, v23, v58
	v_log_f32_e32 v23, v23
	v_cndmask_b32_e64 v58, 0, v36, s[2:3]
	v_sub_f32_e32 v23, v23, v58
	v_mul_f32_e32 v23, 0xbfb17218, v23
	v_cmp_gt_f32_e64 s[2:3], s19, v23
	v_mul_f32_e32 v58, 0x4f800000, v23
	v_cndmask_b32_e64 v23, v23, v58, s[2:3]
	v_sqrt_f32_e32 v58, v23
	v_add_u32_e32 v59, -1, v58
	v_fma_f32 v60, -v59, v58, v23
	v_cmp_ge_f32_e64 s[4:5], 0, v60
	v_add_u32_e32 v60, 1, v58
	v_cndmask_b32_e64 v59, v58, v59, s[4:5]
	v_fma_f32 v58, -v60, v58, v23
	v_cmp_lt_f32_e64 s[4:5], 0, v58
	v_cndmask_b32_e64 v58, v59, v60, s[4:5]
	v_mul_f32_e32 v59, 0x37800000, v58
	v_cndmask_b32_e64 v58, v58, v59, s[2:3]
	v_cmp_class_f32_e64 s[2:3], v23, v24
	v_cndmask_b32_e64 v23, v58, v23, s[2:3]
	v_mul_f32_e32 v22, v23, v22
	v_cndmask_b32_e32 v23, v40, v56, vcc
	v_lshl_add_u32 v59, v23, 4, v34
	v_add_u32_e32 v60, 0x9e3779b9, v23
	v_min_f32_e32 v22, 4.0, v22
	v_xor_b32_e32 v59, v59, v60
	v_lshrrev_b32_e32 v60, 5, v23
	v_max_f32_e32 v58, -4.0, v22
	v_cndmask_b32_e32 v22, v56, v40, vcc
	v_add_u32_e32 v60, 0xc8013ea4, v60
	v_xad_u32 v22, v59, v60, v22
	v_lshl_add_u32 v59, v22, 4, v35
	v_add_u32_e32 v60, 0x9e3779b9, v22
	v_xor_b32_e32 v59, v59, v60
	v_lshrrev_b32_e32 v60, 5, v22
	v_add_u32_e32 v60, 0x7e95761e, v60
	v_xad_u32 v23, v59, v60, v23
	v_lshl_add_u32 v59, v23, 4, v34
	v_add_u32_e32 v60, 0x3c6ef372, v23
	v_xor_b32_e32 v59, v59, v60
	v_lshrrev_b32_e32 v60, 5, v23
	;; [unrolled: 6-line block ×7, first 2 shown]
	v_cvt_f32_i32_e32 v22, v22
	v_add_u32_e32 v60, 0x7e95761e, v60
	v_xad_u32 v23, v59, v60, v23
	v_mul_f32_e32 v22, 0x30000000, v22
	v_mul_f32_e64 v60, |v22|, 0.5
	v_fract_f32_e32 v61, v60
	v_add_f32_e32 v61, v61, v61
	v_cmp_neq_f32_e64 s[2:3], s51, v60
	v_cndmask_b32_e64 v60, 0, v61, s[2:3]
	v_cmp_gt_f32_e64 s[2:3], |v22|, 1.0
	v_cndmask_b32_e64 v60, |v22|, v60, s[2:3]
	v_add_f32_e32 v61, v60, v60
	v_rndne_f32_e32 v61, v61
	v_fmac_f32_e32 v60, -0.5, v61
	v_mul_f32_e32 v62, v60, v60
	v_cvt_i32_f32_e32 v61, v61
	v_fmac_f32_e32 v63, 0x3e75aa41, v62
	v_fma_f32 v63, v62, v63, v26
	v_fmac_f32_e32 v14, 0x3d4be544, v62
	v_fma_f32 v63, v62, v63, v27
	v_mul_f32_e32 v13, v60, v62
	v_fma_f32 v14, v62, v14, v28
	v_mul_f32_e32 v13, v13, v63
	v_fma_f32 v14, v62, v14, v29
	v_fmac_f32_e32 v13, 0x40490fdb, v60
	v_fma_f32 v14, v62, v14, v30
	v_and_b32_e32 v60, 1, v61
	v_fma_f32 v14, v62, v14, 1.0
	v_cmp_eq_u32_e64 s[2:3], 0, v60
	v_and_b32_e32 v59, 0x7fffffff, v22
	v_cndmask_b32_e64 v13, v14, v13, s[2:3]
	v_lshlrev_b32_e32 v14, 30, v61
	v_and_b32_e32 v14, 0x80000000, v14
	v_xor_b32_e32 v59, v59, v22
	v_xor_b32_e32 v14, v59, v14
	;; [unrolled: 1-line block ×3, first 2 shown]
	v_cvt_f32_u32_e32 v14, v23
	v_cmp_class_f32_e64 s[2:3], v22, s57
	v_cndmask_b32_e64 v13, v33, v13, s[2:3]
	v_mov_b32_e32 v62, 0xbf1f24be
	v_mul_f32_e32 v14, 0x2f800000, v14
	v_cmp_gt_f32_e64 s[2:3], s58, v14
	v_cndmask_b32_e64 v22, 0, 32, s[2:3]
	v_ldexp_f32 v14, v14, v22
	v_log_f32_e32 v14, v14
	v_cndmask_b32_e64 v22, 0, v36, s[2:3]
	v_sub_f32_e32 v14, v14, v22
	v_mul_f32_e32 v14, 0xbfb17218, v14
	v_cmp_gt_f32_e64 s[2:3], s19, v14
	v_mul_f32_e32 v22, 0x4f800000, v14
	v_cndmask_b32_e64 v14, v14, v22, s[2:3]
	v_sqrt_f32_e32 v22, v14
	v_add_u32_e32 v23, -1, v22
	v_fma_f32 v59, -v23, v22, v14
	v_cmp_ge_f32_e64 s[4:5], 0, v59
	v_add_u32_e32 v59, 1, v22
	v_cndmask_b32_e64 v23, v22, v23, s[4:5]
	v_fma_f32 v22, -v59, v22, v14
	v_cmp_lt_f32_e64 s[4:5], 0, v22
	v_cndmask_b32_e64 v22, v23, v59, s[4:5]
	v_mul_f32_e32 v23, 0x37800000, v22
	v_cndmask_b32_e64 v22, v22, v23, s[2:3]
	v_cmp_class_f32_e64 s[2:3], v14, v24
	v_cndmask_b32_e64 v14, v22, v14, s[2:3]
	v_mul_f32_e32 v13, v14, v13
	v_cndmask_b32_e32 v14, v40, v57, vcc
	v_lshl_add_u32 v22, v14, 4, v34
	v_add_u32_e32 v23, 0x9e3779b9, v14
	v_min_f32_e32 v13, 4.0, v13
	v_xor_b32_e32 v22, v22, v23
	v_lshrrev_b32_e32 v23, 5, v14
	v_max_f32_e32 v59, -4.0, v13
	v_cndmask_b32_e32 v13, v57, v40, vcc
	v_add_u32_e32 v23, 0xc8013ea4, v23
	v_xad_u32 v13, v22, v23, v13
	v_lshl_add_u32 v22, v13, 4, v35
	v_add_u32_e32 v23, 0x9e3779b9, v13
	v_xor_b32_e32 v22, v22, v23
	v_lshrrev_b32_e32 v23, 5, v13
	v_add_u32_e32 v23, 0x7e95761e, v23
	v_xad_u32 v14, v22, v23, v14
	v_lshl_add_u32 v22, v14, 4, v34
	v_add_u32_e32 v23, 0x3c6ef372, v14
	v_xor_b32_e32 v22, v22, v23
	v_lshrrev_b32_e32 v23, 5, v14
	;; [unrolled: 6-line block ×7, first 2 shown]
	v_cvt_f32_i32_e32 v13, v13
	v_add_u32_e32 v23, 0x7e95761e, v23
	v_xad_u32 v14, v22, v23, v14
	v_cvt_f32_u32_e32 v14, v14
	v_mul_f32_e32 v13, 0x30000000, v13
	v_mul_f32_e64 v23, |v13|, 0.5
	v_fract_f32_e32 v60, v23
	v_add_f32_e32 v60, v60, v60
	v_cmp_neq_f32_e64 s[2:3], s51, v23
	v_cndmask_b32_e64 v23, 0, v60, s[2:3]
	v_cmp_gt_f32_e64 s[2:3], |v13|, 1.0
	v_cndmask_b32_e64 v23, |v13|, v23, s[2:3]
	v_add_f32_e32 v60, v23, v23
	v_rndne_f32_e32 v60, v60
	v_fmac_f32_e32 v23, -0.5, v60
	v_mul_f32_e32 v61, v23, v23
	v_fmac_f32_e32 v62, 0x3e75aa41, v61
	v_fma_f32 v62, v61, v62, v26
	v_fma_f32 v62, v61, v62, v27
	v_mul_f32_e32 v63, v23, v61
	v_mul_f32_e32 v62, v63, v62
	v_fmac_f32_e32 v62, 0x40490fdb, v23
	v_mov_b32_e32 v23, 0x3e642e9d
	v_cvt_i32_f32_e32 v60, v60
	v_fmac_f32_e32 v23, 0x3d4be544, v61
	v_fma_f32 v23, v61, v23, v28
	v_fma_f32 v23, v61, v23, v29
	;; [unrolled: 1-line block ×3, first 2 shown]
	v_and_b32_e32 v22, 0x7fffffff, v13
	v_fma_f32 v23, v61, v23, 1.0
	v_and_b32_e32 v61, 1, v60
	v_lshlrev_b32_e32 v60, 30, v60
	v_cmp_eq_u32_e64 s[2:3], 0, v61
	v_and_b32_e32 v60, 0x80000000, v60
	v_xor_b32_e32 v22, v22, v13
	v_cndmask_b32_e64 v23, v23, v62, s[2:3]
	v_xor_b32_e32 v22, v22, v60
	v_xor_b32_e32 v22, v22, v23
	v_cmp_class_f32_e64 s[2:3], v13, s57
	v_mul_f32_e32 v14, 0x2f800000, v14
	v_cndmask_b32_e64 v13, v33, v22, s[2:3]
	v_cmp_gt_f32_e64 s[2:3], s58, v14
	v_cndmask_b32_e64 v22, 0, 32, s[2:3]
	v_ldexp_f32 v14, v14, v22
	v_log_f32_e32 v14, v14
	v_cndmask_b32_e64 v22, 0, v36, s[2:3]
	v_mov_b32_e32 v62, 0xbf1f24be
	v_sub_f32_e32 v14, v14, v22
	v_mul_f32_e32 v14, 0xbfb17218, v14
	v_cmp_gt_f32_e64 s[2:3], s19, v14
	v_mul_f32_e32 v22, 0x4f800000, v14
	v_cndmask_b32_e64 v14, v14, v22, s[2:3]
	v_sqrt_f32_e32 v22, v14
	v_add_u32_e32 v23, -1, v22
	v_fma_f32 v60, -v23, v22, v14
	v_cmp_ge_f32_e64 s[4:5], 0, v60
	v_add_u32_e32 v60, 1, v22
	v_cndmask_b32_e64 v23, v22, v23, s[4:5]
	v_fma_f32 v22, -v60, v22, v14
	v_cmp_lt_f32_e64 s[4:5], 0, v22
	v_cndmask_b32_e64 v22, v23, v60, s[4:5]
	v_mul_f32_e32 v23, 0x37800000, v22
	v_cndmask_b32_e64 v22, v22, v23, s[2:3]
	v_cmp_class_f32_e64 s[2:3], v14, v24
	v_cndmask_b32_e64 v14, v22, v14, s[2:3]
	v_mul_f32_e32 v13, v14, v13
	v_min_f32_e32 v13, 4.0, v13
	v_max_f32_e32 v60, -4.0, v13
	v_cndmask_b32_e32 v13, v7, v41, vcc
	v_cndmask_b32_e32 v7, v41, v7, vcc
	v_lshl_add_u32 v14, v7, 4, v34
	v_add_u32_e32 v22, 0x9e3779b9, v7
	v_xor_b32_e32 v14, v14, v22
	v_lshrrev_b32_e32 v22, 5, v7
	v_add_u32_e32 v22, 0xc8013ea4, v22
	v_xad_u32 v13, v14, v22, v13
	v_lshl_add_u32 v14, v13, 4, v35
	v_add_u32_e32 v22, 0x9e3779b9, v13
	v_xor_b32_e32 v14, v14, v22
	v_lshrrev_b32_e32 v22, 5, v13
	v_add_u32_e32 v22, 0x7e95761e, v22
	v_xad_u32 v7, v14, v22, v7
	;; [unrolled: 6-line block ×7, first 2 shown]
	v_lshl_add_u32 v14, v13, 4, v35
	v_add_u32_e32 v22, 0x78dde6e4, v13
	v_xor_b32_e32 v14, v14, v22
	v_lshrrev_b32_e32 v22, 5, v13
	v_cvt_f32_i32_e32 v13, v13
	v_add_u32_e32 v22, 0x7e95761e, v22
	v_xad_u32 v7, v14, v22, v7
	v_cvt_f32_u32_e32 v7, v7
	v_mul_f32_e32 v13, 0x30000000, v13
	v_mul_f32_e64 v22, |v13|, 0.5
	v_fract_f32_e32 v23, v22
	v_add_f32_e32 v23, v23, v23
	v_cmp_neq_f32_e64 s[2:3], s51, v22
	v_cndmask_b32_e64 v22, 0, v23, s[2:3]
	v_cmp_gt_f32_e64 s[2:3], |v13|, 1.0
	v_cndmask_b32_e64 v22, |v13|, v22, s[2:3]
	v_add_f32_e32 v23, v22, v22
	v_rndne_f32_e32 v23, v23
	v_fmac_f32_e32 v22, -0.5, v23
	v_mul_f32_e32 v61, v22, v22
	v_fmac_f32_e32 v62, 0x3e75aa41, v61
	v_fma_f32 v62, v61, v62, v26
	v_fma_f32 v62, v61, v62, v27
	v_mul_f32_e32 v63, v22, v61
	v_mul_f32_e32 v62, v63, v62
	v_fmac_f32_e32 v62, 0x40490fdb, v22
	v_mov_b32_e32 v22, 0x3e642e9d
	v_cvt_i32_f32_e32 v23, v23
	v_fmac_f32_e32 v22, 0x3d4be544, v61
	v_fma_f32 v22, v61, v22, v28
	v_fma_f32 v22, v61, v22, v29
	;; [unrolled: 1-line block ×3, first 2 shown]
	v_and_b32_e32 v14, 0x7fffffff, v13
	v_fma_f32 v22, v61, v22, 1.0
	v_and_b32_e32 v61, 1, v23
	v_lshlrev_b32_e32 v23, 30, v23
	v_cmp_eq_u32_e64 s[2:3], 0, v61
	v_and_b32_e32 v23, 0x80000000, v23
	v_xor_b32_e32 v14, v14, v13
	v_cndmask_b32_e64 v22, v22, v62, s[2:3]
	v_xor_b32_e32 v14, v14, v23
	v_xor_b32_e32 v14, v14, v22
	v_cmp_class_f32_e64 s[2:3], v13, s57
	v_mul_f32_e32 v7, 0x2f800000, v7
	v_cndmask_b32_e64 v13, v33, v14, s[2:3]
	v_cmp_gt_f32_e64 s[2:3], s58, v7
	v_cndmask_b32_e64 v14, 0, 32, s[2:3]
	v_ldexp_f32 v7, v7, v14
	v_log_f32_e32 v7, v7
	v_cndmask_b32_e64 v14, 0, v36, s[2:3]
	v_mov_b32_e32 v62, 0xbf1f24be
	v_sub_f32_e32 v7, v7, v14
	v_mul_f32_e32 v7, 0xbfb17218, v7
	v_cmp_gt_f32_e64 s[2:3], s19, v7
	v_mul_f32_e32 v14, 0x4f800000, v7
	v_cndmask_b32_e64 v7, v7, v14, s[2:3]
	v_sqrt_f32_e32 v14, v7
	v_add_u32_e32 v22, -1, v14
	v_fma_f32 v23, -v22, v14, v7
	v_cmp_ge_f32_e64 s[4:5], 0, v23
	v_add_u32_e32 v23, 1, v14
	v_cndmask_b32_e64 v22, v14, v22, s[4:5]
	v_fma_f32 v14, -v23, v14, v7
	v_cmp_lt_f32_e64 s[4:5], 0, v14
	v_cndmask_b32_e64 v14, v22, v23, s[4:5]
	v_mul_f32_e32 v22, 0x37800000, v14
	v_cndmask_b32_e64 v14, v14, v22, s[2:3]
	v_cmp_class_f32_e64 s[2:3], v7, v24
	v_cndmask_b32_e64 v7, v14, v7, s[2:3]
	v_mul_f32_e32 v7, v7, v13
	v_cndmask_b32_e32 v13, v41, v56, vcc
	v_lshl_add_u32 v14, v13, 4, v34
	v_add_u32_e32 v22, 0x9e3779b9, v13
	v_min_f32_e32 v7, 4.0, v7
	v_xor_b32_e32 v14, v14, v22
	v_lshrrev_b32_e32 v22, 5, v13
	v_max_f32_e32 v61, -4.0, v7
	v_cndmask_b32_e32 v7, v56, v41, vcc
	v_add_u32_e32 v22, 0xc8013ea4, v22
	v_xad_u32 v7, v14, v22, v7
	v_lshl_add_u32 v14, v7, 4, v35
	v_add_u32_e32 v22, 0x9e3779b9, v7
	v_xor_b32_e32 v14, v14, v22
	v_lshrrev_b32_e32 v22, 5, v7
	v_add_u32_e32 v22, 0x7e95761e, v22
	v_xad_u32 v13, v14, v22, v13
	v_lshl_add_u32 v14, v13, 4, v34
	v_add_u32_e32 v22, 0x3c6ef372, v13
	v_xor_b32_e32 v14, v14, v22
	v_lshrrev_b32_e32 v22, 5, v13
	;; [unrolled: 6-line block ×7, first 2 shown]
	v_cvt_f32_i32_e32 v7, v7
	v_add_u32_e32 v22, 0x7e95761e, v22
	v_xad_u32 v13, v14, v22, v13
	v_cvt_f32_u32_e32 v13, v13
	v_mul_f32_e32 v7, 0x30000000, v7
	v_mul_f32_e64 v22, |v7|, 0.5
	v_fract_f32_e32 v23, v22
	v_add_f32_e32 v23, v23, v23
	v_cmp_neq_f32_e64 s[2:3], s51, v22
	v_cndmask_b32_e64 v22, 0, v23, s[2:3]
	v_cmp_gt_f32_e64 s[2:3], |v7|, 1.0
	v_cndmask_b32_e64 v22, |v7|, v22, s[2:3]
	v_add_f32_e32 v23, v22, v22
	v_rndne_f32_e32 v23, v23
	v_fmac_f32_e32 v22, -0.5, v23
	v_mul_f32_e32 v56, v22, v22
	v_fmac_f32_e32 v62, 0x3e75aa41, v56
	v_fma_f32 v62, v56, v62, v26
	v_fma_f32 v62, v56, v62, v27
	v_mul_f32_e32 v63, v22, v56
	v_mul_f32_e32 v62, v63, v62
	v_fmac_f32_e32 v62, 0x40490fdb, v22
	v_mov_b32_e32 v22, 0x3e642e9d
	v_cvt_i32_f32_e32 v23, v23
	v_fmac_f32_e32 v22, 0x3d4be544, v56
	v_fma_f32 v22, v56, v22, v28
	v_fma_f32 v22, v56, v22, v29
	;; [unrolled: 1-line block ×3, first 2 shown]
	v_and_b32_e32 v14, 0x7fffffff, v7
	v_fma_f32 v22, v56, v22, 1.0
	v_and_b32_e32 v56, 1, v23
	v_lshlrev_b32_e32 v23, 30, v23
	v_cmp_eq_u32_e64 s[2:3], 0, v56
	v_and_b32_e32 v23, 0x80000000, v23
	v_xor_b32_e32 v14, v14, v7
	v_cndmask_b32_e64 v22, v22, v62, s[2:3]
	v_xor_b32_e32 v14, v14, v23
	v_xor_b32_e32 v14, v14, v22
	v_cmp_class_f32_e64 s[2:3], v7, s57
	v_mul_f32_e32 v13, 0x2f800000, v13
	v_cndmask_b32_e64 v7, v33, v14, s[2:3]
	v_cmp_gt_f32_e64 s[2:3], s58, v13
	v_cndmask_b32_e64 v14, 0, 32, s[2:3]
	v_ldexp_f32 v13, v13, v14
	v_log_f32_e32 v13, v13
	v_cndmask_b32_e64 v14, 0, v36, s[2:3]
	v_mov_b32_e32 v62, 0xbf1f24be
	v_sub_f32_e32 v13, v13, v14
	v_mul_f32_e32 v13, 0xbfb17218, v13
	v_cmp_gt_f32_e64 s[2:3], s19, v13
	v_mul_f32_e32 v14, 0x4f800000, v13
	v_cndmask_b32_e64 v13, v13, v14, s[2:3]
	v_sqrt_f32_e32 v14, v13
	v_add_u32_e32 v22, -1, v14
	v_fma_f32 v23, -v22, v14, v13
	v_cmp_ge_f32_e64 s[4:5], 0, v23
	v_add_u32_e32 v23, 1, v14
	v_cndmask_b32_e64 v22, v14, v22, s[4:5]
	v_fma_f32 v14, -v23, v14, v13
	v_cmp_lt_f32_e64 s[4:5], 0, v14
	v_cndmask_b32_e64 v14, v22, v23, s[4:5]
	v_mul_f32_e32 v22, 0x37800000, v14
	v_cndmask_b32_e64 v14, v14, v22, s[2:3]
	v_cmp_class_f32_e64 s[2:3], v13, v24
	v_cndmask_b32_e64 v13, v14, v13, s[2:3]
	v_mul_f32_e32 v7, v13, v7
	v_cndmask_b32_e32 v13, v41, v57, vcc
	v_lshl_add_u32 v14, v13, 4, v34
	v_add_u32_e32 v22, 0x9e3779b9, v13
	v_min_f32_e32 v7, 4.0, v7
	v_xor_b32_e32 v14, v14, v22
	v_lshrrev_b32_e32 v22, 5, v13
	v_max_f32_e32 v56, -4.0, v7
	v_cndmask_b32_e32 v7, v57, v41, vcc
	v_add_u32_e32 v22, 0xc8013ea4, v22
	v_xad_u32 v7, v14, v22, v7
	v_lshl_add_u32 v14, v7, 4, v35
	v_add_u32_e32 v22, 0x9e3779b9, v7
	v_xor_b32_e32 v14, v14, v22
	v_lshrrev_b32_e32 v22, 5, v7
	v_add_u32_e32 v22, 0x7e95761e, v22
	v_xad_u32 v13, v14, v22, v13
	v_lshl_add_u32 v14, v13, 4, v34
	v_add_u32_e32 v22, 0x3c6ef372, v13
	v_xor_b32_e32 v14, v14, v22
	v_lshrrev_b32_e32 v22, 5, v13
	;; [unrolled: 6-line block ×7, first 2 shown]
	v_cvt_f32_i32_e32 v7, v7
	v_add_u32_e32 v22, 0x7e95761e, v22
	v_xad_u32 v13, v14, v22, v13
	v_cvt_f32_u32_e32 v13, v13
	v_mul_f32_e32 v7, 0x30000000, v7
	v_mul_f32_e64 v22, |v7|, 0.5
	v_fract_f32_e32 v23, v22
	v_add_f32_e32 v23, v23, v23
	v_cmp_neq_f32_e32 vcc, s51, v22
	v_cndmask_b32_e32 v22, 0, v23, vcc
	v_cmp_gt_f32_e64 s[2:3], |v7|, 1.0
	v_cndmask_b32_e64 v22, |v7|, v22, s[2:3]
	v_add_f32_e32 v23, v22, v22
	v_rndne_f32_e32 v23, v23
	v_fmac_f32_e32 v22, -0.5, v23
	v_mul_f32_e32 v57, v22, v22
	v_fmac_f32_e32 v62, 0x3e75aa41, v57
	v_fma_f32 v62, v57, v62, v26
	v_fma_f32 v62, v57, v62, v27
	v_mul_f32_e32 v63, v22, v57
	v_mul_f32_e32 v62, v63, v62
	v_fmac_f32_e32 v62, 0x40490fdb, v22
	v_mov_b32_e32 v22, 0x3e642e9d
	v_cvt_i32_f32_e32 v23, v23
	v_fmac_f32_e32 v22, 0x3d4be544, v57
	v_fma_f32 v22, v57, v22, v28
	v_fma_f32 v22, v57, v22, v29
	;; [unrolled: 1-line block ×3, first 2 shown]
	v_and_b32_e32 v14, 0x7fffffff, v7
	v_fma_f32 v22, v57, v22, 1.0
	v_and_b32_e32 v57, 1, v23
	v_lshlrev_b32_e32 v23, 30, v23
	v_cmp_eq_u32_e32 vcc, 0, v57
	v_and_b32_e32 v23, 0x80000000, v23
	v_xor_b32_e32 v14, v14, v7
	v_cndmask_b32_e32 v22, v22, v62, vcc
	v_xor_b32_e32 v14, v14, v23
	v_xor_b32_e32 v14, v14, v22
	v_cmp_class_f32_e64 vcc, v7, s57
	v_mul_f32_e32 v13, 0x2f800000, v13
	v_cndmask_b32_e32 v7, v33, v14, vcc
	v_cmp_gt_f32_e32 vcc, s58, v13
	v_cndmask_b32_e64 v14, 0, 32, vcc
	v_ldexp_f32 v13, v13, v14
	v_log_f32_e32 v13, v13
	v_cndmask_b32_e32 v14, 0, v36, vcc
	v_sub_f32_e32 v13, v13, v14
	v_mul_f32_e32 v13, 0xbfb17218, v13
	v_cmp_gt_f32_e32 vcc, s19, v13
	v_mul_f32_e32 v14, 0x4f800000, v13
	v_cndmask_b32_e32 v13, v13, v14, vcc
	v_sqrt_f32_e32 v14, v13
	v_add_u32_e32 v22, -1, v14
	v_fma_f32 v23, -v22, v14, v13
	v_cmp_ge_f32_e64 s[2:3], 0, v23
	v_add_u32_e32 v23, 1, v14
	v_cndmask_b32_e64 v22, v14, v22, s[2:3]
	v_fma_f32 v14, -v23, v14, v13
	v_cmp_lt_f32_e64 s[2:3], 0, v14
	v_cndmask_b32_e64 v14, v22, v23, s[2:3]
	v_mul_f32_e32 v22, 0x37800000, v14
	v_cndmask_b32_e32 v14, v14, v22, vcc
	v_cmp_class_f32_e32 vcc, v13, v24
	v_cndmask_b32_e32 v13, v14, v13, vcc
	v_mul_f32_e32 v7, v13, v7
	v_min_f32_e32 v7, 4.0, v7
	v_max_f32_e32 v13, -4.0, v7
	v_div_scale_f32 v7, s[2:3], v50, v50, v47
	v_rcp_f32_e32 v14, v7
	v_fma_f32 v22, -v7, v14, 1.0
	v_fmac_f32_e32 v14, v22, v14
	v_div_scale_f32 v22, vcc, v47, v50, v47
	v_mul_f32_e32 v23, v22, v14
	v_fma_f32 v57, -v7, v23, v22
	v_fmac_f32_e32 v23, v57, v14
	v_fma_f32 v7, -v7, v23, v22
	v_div_fmas_f32 v7, v7, v14, v23
	v_div_fixup_f32 v14, v7, v50, v47
	v_div_scale_f32 v7, s[2:3], v44, v44, v52
	v_rcp_f32_e32 v22, v7
	v_fma_f32 v23, -v7, v22, 1.0
	v_fmac_f32_e32 v22, v23, v22
	v_div_scale_f32 v23, vcc, v52, v44, v52
	v_mul_f32_e32 v47, v23, v22
	v_fma_f32 v57, -v7, v47, v23
	v_fmac_f32_e32 v47, v57, v22
	v_fma_f32 v7, -v7, v47, v23
	v_div_fmas_f32 v7, v7, v22, v47
	v_cmp_ngt_f64_e32 vcc, s[38:39], v[4:5]
	v_mov_b32_e32 v4, 0x3c23d70a
	v_cndmask_b32_e32 v23, v4, v51, vcc
	v_add_f32_e32 v4, v53, v59
	v_add_f32_e32 v4, v4, v13
	v_div_fixup_f32 v47, v7, v44, v52
	v_mov_b32_e32 v7, 0x3f7d70a4
	v_cndmask_b32_e64 v22, v7, v48, s[0:1]
	v_div_scale_f32 v5, s[0:1], s59, s59, v4
	v_rcp_f32_e32 v7, v5
	v_fma_f32 v48, -v5, v7, 1.0
	v_fmac_f32_e32 v7, v48, v7
	v_div_scale_f32 v48, vcc, v4, s59, v4
	v_mul_f32_e32 v51, v48, v7
	v_fma_f32 v52, -v5, v51, v48
	v_fmac_f32_e32 v51, v52, v7
	v_fma_f32 v5, -v5, v51, v48
	v_div_fmas_f32 v5, v5, v7, v51
	v_div_fixup_f32 v48, v5, s59, v4
	v_add_f32_e32 v5, v54, v58
	v_mul_f32_e32 v5, 0.5, v5
	v_sub_f32_e32 v4, v53, v48
	v_mul_f32_e32 v7, v42, v5
	v_fmac_f32_e32 v7, v45, v4
	v_add_f32_e32 v4, v55, v61
	v_mul_f32_e32 v51, 0.5, v4
	v_mul_f32_e32 v5, v45, v5
	v_sub_f32_e32 v4, v59, v48
	v_fmac_f32_e32 v5, v42, v4
	v_add_f32_e32 v4, v60, v56
	v_mul_f32_e32 v4, 0.5, v4
	v_fmac_f32_e32 v5, v17, v4
	v_mul_f32_e32 v4, v42, v4
	v_fmac_f32_e32 v4, v45, v51
	v_sub_f32_e32 v13, v13, v48
	v_fmac_f32_e32 v4, v17, v13
	v_sub_f32_e32 v13, 1.0, v22
	v_fmac_f32_e32 v7, v17, v51
	v_div_scale_f32 v51, s[0:1], v13, v13, s56
	v_rcp_f32_e32 v52, v51
	v_fma_f32 v53, -v51, v52, 1.0
	v_fmac_f32_e32 v52, v53, v52
	v_div_scale_f32 v53, vcc, s56, v13, s56
	v_mul_f32_e32 v54, v53, v52
	v_fma_f32 v55, -v51, v54, v53
	v_fmac_f32_e32 v54, v55, v52
	v_fma_f32 v51, -v51, v54, v53
	v_div_fmas_f32 v51, v51, v52, v54
	v_div_fixup_f32 v51, v51, v13, s56
	v_div_scale_f32 v52, s[0:1], v13, v13, v51
	v_rcp_f32_e32 v53, v52
	v_fma_f32 v54, -v52, v53, 1.0
	v_fmac_f32_e32 v53, v54, v53
	v_div_scale_f32 v54, vcc, v51, v13, v51
	v_mul_f32_e32 v55, v54, v53
	v_fma_f32 v56, -v52, v55, v54
	v_fmac_f32_e32 v55, v56, v53
	v_fma_f32 v52, -v52, v55, v54
	v_div_fmas_f32 v52, v52, v53, v55
	v_div_fixup_f32 v13, v52, v13, v51
	v_add_f32_e32 v13, 0xbe800000, v13
	v_add_f32_e32 v13, v22, v13
	v_mul_f32_e32 v13, v13, v49
	v_div_scale_f32 v22, s[0:1], v50, v50, v13
	v_rcp_f32_e32 v49, v22
	v_fma_f32 v51, -v22, v49, 1.0
	v_fmac_f32_e32 v49, v51, v49
	v_div_scale_f32 v51, vcc, v13, v50, v13
	v_mul_f32_e32 v52, v51, v49
	v_fma_f32 v53, -v22, v52, v51
	v_fmac_f32_e32 v52, v53, v49
	v_fma_f32 v22, -v22, v52, v51
	v_div_fmas_f32 v22, v22, v49, v52
	v_div_fixup_f32 v13, v22, v50, v13
	v_div_scale_f32 v22, s[0:1], v44, v44, v13
	v_rcp_f32_e32 v49, v22
	v_fma_f32 v50, -v22, v49, 1.0
	v_fmac_f32_e32 v49, v50, v49
	v_div_scale_f32 v50, vcc, v13, v44, v13
	v_mul_f32_e32 v51, v50, v49
	v_fma_f32 v52, -v22, v51, v50
	v_fmac_f32_e32 v51, v52, v49
	v_fma_f32 v22, -v22, v51, v50
	v_div_fmas_f32 v22, v22, v49, v51
	v_div_fixup_f32 v13, v22, v44, v13
	;; [unrolled: 11-line block ×3, first 2 shown]
	v_sub_f32_e32 v49, v14, v13
	v_add_u32_e32 v13, s47, v18
	ds_read_b32 v50, v13
	v_add_u32_e32 v13, s45, v18
	ds_read_b32 v13, v13
	s_waitcnt lgkmcnt(0)
	v_mul_f32_e32 v13, v47, v13
	v_fma_f32 v13, v48, v50, -v13
	v_div_scale_f32 v14, s[0:1], v44, v44, v13
	v_rcp_f32_e32 v22, v14
	v_fma_f32 v23, -v14, v22, 1.0
	v_fmac_f32_e32 v22, v23, v22
	v_div_scale_f32 v23, vcc, v13, v44, v13
	v_mul_f32_e32 v47, v23, v22
	v_fma_f32 v48, -v14, v47, v23
	v_fmac_f32_e32 v47, v48, v22
	v_fma_f32 v14, -v14, v47, v23
	v_div_fmas_f32 v14, v14, v22, v47
	v_div_fixup_f32 v13, v14, v44, v13
	v_add_f32_e32 v47, v49, v13
	v_add_u32_e32 v13, s46, v18
	ds_read_b32 v48, v13
	s_waitcnt lgkmcnt(0)
	v_mul_f32_e32 v13, v46, v48
	v_fma_f32 v45, v45, v47, -v13
	v_add_u32_e32 v13, s48, v18
	ds_read_b32 v13, v13
	v_mul_f32_e32 v6, v6, v48
	v_fma_f32 v6, v17, v47, -v6
	s_waitcnt lgkmcnt(0)
	v_mul_f32_e32 v7, v7, v13
	v_div_scale_f32 v14, s[0:1], v44, v44, v7
	v_mul_f32_e32 v5, v13, v5
	v_mul_f32_e32 v4, v13, v4
	v_div_scale_f32 v13, s[0:1], v44, v44, v4
	v_rcp_f32_e32 v18, v14
	v_fma_f32 v22, -v14, v18, 1.0
	v_fmac_f32_e32 v18, v22, v18
	v_div_scale_f32 v22, vcc, v7, v44, v7
	v_mul_f32_e32 v23, v22, v18
	v_fma_f32 v46, -v14, v23, v22
	v_fmac_f32_e32 v23, v46, v18
	v_fma_f32 v14, -v14, v23, v22
	v_div_fmas_f32 v14, v14, v18, v23
	v_div_scale_f32 v18, s[0:1], v44, v44, v5
	v_div_fixup_f32 v7, v14, v44, v7
	v_rcp_f32_e32 v22, v18
	v_mul_f32_e32 v14, v43, v48
	v_fma_f32 v14, v42, v47, -v14
	v_add_f32_e32 v7, v7, v45
	v_fma_f32 v23, -v18, v22, 1.0
	v_fmac_f32_e32 v22, v23, v22
	v_div_scale_f32 v23, vcc, v5, v44, v5
	v_add_f32_e32 v12, v12, v7
	v_mul_f32_e32 v42, v23, v22
	v_fma_f32 v43, -v18, v42, v23
	v_fmac_f32_e32 v42, v43, v22
	v_fma_f32 v18, -v18, v42, v23
	v_div_fmas_f32 v18, v18, v22, v42
	v_div_fixup_f32 v5, v18, v44, v5
	v_add_f32_e32 v5, v5, v14
	v_rcp_f32_e32 v14, v13
	v_add_f32_e32 v38, v38, v5
	v_fma_f32 v17, -v13, v14, 1.0
	v_fmac_f32_e32 v14, v17, v14
	v_div_scale_f32 v17, vcc, v4, v44, v4
	v_mul_f32_e32 v18, v17, v14
	v_fma_f32 v22, -v13, v18, v17
	v_fmac_f32_e32 v18, v22, v14
	v_fma_f32 v13, -v13, v18, v17
	v_div_fmas_f32 v13, v13, v14, v18
	v_add_co_u32_e32 v15, vcc, s30, v15
	v_div_fixup_f32 v4, v13, v44, v4
	v_add_f32_e32 v4, v4, v6
	v_add_f32_e32 v39, v39, v4
	v_mov_b32_e32 v4, s31
	v_addc_co_u32_e32 v16, vcc, v16, v4, vcc
	v_cmp_eq_u32_e32 vcc, 0, v37
	s_or_b64 s[42:43], vcc, s[42:43]
	s_andn2_b64 exec, exec, s[42:43]
	s_cbranch_execnz .LBB0_11
; %bb.12:                               ;   in Loop: Header=BB0_9 Depth=1
	s_or_b64 exec, exec, s[42:43]
	v_cvt_f64_f32_e32 v[2:3], v38
	v_cvt_f64_f32_e32 v[4:5], v39
	buffer_load_dword v14, off, s[60:63], 0 offset:8 ; 4-byte Folded Reload
	buffer_load_dword v22, off, s[60:63], 0 offset:12 ; 4-byte Folded Reload
	buffer_load_dword v38, off, s[60:63], 0 ; 4-byte Folded Reload
	buffer_load_dword v39, off, s[60:63], 0 offset:4 ; 4-byte Folded Reload
	v_cvt_f64_f32_e32 v[0:1], v12
	s_branch .LBB0_8
.LBB0_13:
	s_endpgm
	.section	.rodata,"a",@progbits
	.p2align	6, 0x0
	.amdhsa_kernel _Z18bond_wlcpowallviscPdS_S_PK15HIP_vector_typeIfLj4EES3_PKiPKS0_IiLj2EEPKdPKfSC_SC_SC_SC_SC_SC_SC_S0_IfLj3EEiii
		.amdhsa_group_segment_fixed_size 0
		.amdhsa_private_segment_fixed_size 20
		.amdhsa_kernarg_size 408
		.amdhsa_user_sgpr_count 6
		.amdhsa_user_sgpr_private_segment_buffer 1
		.amdhsa_user_sgpr_dispatch_ptr 0
		.amdhsa_user_sgpr_queue_ptr 0
		.amdhsa_user_sgpr_kernarg_segment_ptr 1
		.amdhsa_user_sgpr_dispatch_id 0
		.amdhsa_user_sgpr_flat_scratch_init 0
		.amdhsa_user_sgpr_private_segment_size 0
		.amdhsa_uses_dynamic_stack 0
		.amdhsa_system_sgpr_private_segment_wavefront_offset 1
		.amdhsa_system_sgpr_workgroup_id_x 1
		.amdhsa_system_sgpr_workgroup_id_y 0
		.amdhsa_system_sgpr_workgroup_id_z 0
		.amdhsa_system_sgpr_workgroup_info 0
		.amdhsa_system_vgpr_workitem_id 0
		.amdhsa_next_free_vgpr 64
		.amdhsa_next_free_sgpr 64
		.amdhsa_reserve_vcc 1
		.amdhsa_reserve_flat_scratch 0
		.amdhsa_float_round_mode_32 0
		.amdhsa_float_round_mode_16_64 0
		.amdhsa_float_denorm_mode_32 3
		.amdhsa_float_denorm_mode_16_64 3
		.amdhsa_dx10_clamp 1
		.amdhsa_ieee_mode 1
		.amdhsa_fp16_overflow 0
		.amdhsa_exception_fp_ieee_invalid_op 0
		.amdhsa_exception_fp_denorm_src 0
		.amdhsa_exception_fp_ieee_div_zero 0
		.amdhsa_exception_fp_ieee_overflow 0
		.amdhsa_exception_fp_ieee_underflow 0
		.amdhsa_exception_fp_ieee_inexact 0
		.amdhsa_exception_int_div_zero 0
	.end_amdhsa_kernel
	.text
.Lfunc_end0:
	.size	_Z18bond_wlcpowallviscPdS_S_PK15HIP_vector_typeIfLj4EES3_PKiPKS0_IiLj2EEPKdPKfSC_SC_SC_SC_SC_SC_SC_S0_IfLj3EEiii, .Lfunc_end0-_Z18bond_wlcpowallviscPdS_S_PK15HIP_vector_typeIfLj4EES3_PKiPKS0_IiLj2EEPKdPKfSC_SC_SC_SC_SC_SC_SC_S0_IfLj3EEiii
                                        ; -- End function
	.set _Z18bond_wlcpowallviscPdS_S_PK15HIP_vector_typeIfLj4EES3_PKiPKS0_IiLj2EEPKdPKfSC_SC_SC_SC_SC_SC_SC_S0_IfLj3EEiii.num_vgpr, 64
	.set _Z18bond_wlcpowallviscPdS_S_PK15HIP_vector_typeIfLj4EES3_PKiPKS0_IiLj2EEPKdPKfSC_SC_SC_SC_SC_SC_SC_S0_IfLj3EEiii.num_agpr, 0
	.set _Z18bond_wlcpowallviscPdS_S_PK15HIP_vector_typeIfLj4EES3_PKiPKS0_IiLj2EEPKdPKfSC_SC_SC_SC_SC_SC_SC_S0_IfLj3EEiii.numbered_sgpr, 64
	.set _Z18bond_wlcpowallviscPdS_S_PK15HIP_vector_typeIfLj4EES3_PKiPKS0_IiLj2EEPKdPKfSC_SC_SC_SC_SC_SC_SC_S0_IfLj3EEiii.num_named_barrier, 0
	.set _Z18bond_wlcpowallviscPdS_S_PK15HIP_vector_typeIfLj4EES3_PKiPKS0_IiLj2EEPKdPKfSC_SC_SC_SC_SC_SC_SC_S0_IfLj3EEiii.private_seg_size, 20
	.set _Z18bond_wlcpowallviscPdS_S_PK15HIP_vector_typeIfLj4EES3_PKiPKS0_IiLj2EEPKdPKfSC_SC_SC_SC_SC_SC_SC_S0_IfLj3EEiii.uses_vcc, 1
	.set _Z18bond_wlcpowallviscPdS_S_PK15HIP_vector_typeIfLj4EES3_PKiPKS0_IiLj2EEPKdPKfSC_SC_SC_SC_SC_SC_SC_S0_IfLj3EEiii.uses_flat_scratch, 0
	.set _Z18bond_wlcpowallviscPdS_S_PK15HIP_vector_typeIfLj4EES3_PKiPKS0_IiLj2EEPKdPKfSC_SC_SC_SC_SC_SC_SC_S0_IfLj3EEiii.has_dyn_sized_stack, 0
	.set _Z18bond_wlcpowallviscPdS_S_PK15HIP_vector_typeIfLj4EES3_PKiPKS0_IiLj2EEPKdPKfSC_SC_SC_SC_SC_SC_SC_S0_IfLj3EEiii.has_recursion, 0
	.set _Z18bond_wlcpowallviscPdS_S_PK15HIP_vector_typeIfLj4EES3_PKiPKS0_IiLj2EEPKdPKfSC_SC_SC_SC_SC_SC_SC_S0_IfLj3EEiii.has_indirect_call, 0
	.section	.AMDGPU.csdata,"",@progbits
; Kernel info:
; codeLenInByte = 12836
; TotalNumSgprs: 68
; NumVgprs: 64
; ScratchSize: 20
; MemoryBound: 0
; FloatMode: 240
; IeeeMode: 1
; LDSByteSize: 0 bytes/workgroup (compile time only)
; SGPRBlocks: 8
; VGPRBlocks: 15
; NumSGPRsForWavesPerEU: 68
; NumVGPRsForWavesPerEU: 64
; Occupancy: 4
; WaveLimiterHint : 1
; COMPUTE_PGM_RSRC2:SCRATCH_EN: 1
; COMPUTE_PGM_RSRC2:USER_SGPR: 6
; COMPUTE_PGM_RSRC2:TRAP_HANDLER: 0
; COMPUTE_PGM_RSRC2:TGID_X_EN: 1
; COMPUTE_PGM_RSRC2:TGID_Y_EN: 0
; COMPUTE_PGM_RSRC2:TGID_Z_EN: 0
; COMPUTE_PGM_RSRC2:TIDIG_COMP_CNT: 0
	.section	.AMDGPU.gpr_maximums,"",@progbits
	.set amdgpu.max_num_vgpr, 0
	.set amdgpu.max_num_agpr, 0
	.set amdgpu.max_num_sgpr, 0
	.section	.AMDGPU.csdata,"",@progbits
	.type	__hip_cuid_23ac233e16747f70,@object ; @__hip_cuid_23ac233e16747f70
	.section	.bss,"aw",@nobits
	.globl	__hip_cuid_23ac233e16747f70
__hip_cuid_23ac233e16747f70:
	.byte	0                               ; 0x0
	.size	__hip_cuid_23ac233e16747f70, 1

	.ident	"AMD clang version 22.0.0git (https://github.com/RadeonOpenCompute/llvm-project roc-7.2.4 26084 f58b06dce1f9c15707c5f808fd002e18c2accf7e)"
	.section	".note.GNU-stack","",@progbits
	.addrsig
	.addrsig_sym __hip_cuid_23ac233e16747f70
	.amdgpu_metadata
---
amdhsa.kernels:
  - .args:
      - .address_space:  global
        .offset:         0
        .size:           8
        .value_kind:     global_buffer
      - .address_space:  global
        .offset:         8
        .size:           8
        .value_kind:     global_buffer
      - .address_space:  global
        .offset:         16
        .size:           8
        .value_kind:     global_buffer
      - .actual_access:  read_only
        .address_space:  global
        .offset:         24
        .size:           8
        .value_kind:     global_buffer
      - .actual_access:  read_only
        .address_space:  global
        .offset:         32
        .size:           8
        .value_kind:     global_buffer
      - .actual_access:  read_only
        .address_space:  global
        .offset:         40
        .size:           8
        .value_kind:     global_buffer
      - .actual_access:  read_only
        .address_space:  global
        .offset:         48
        .size:           8
        .value_kind:     global_buffer
      - .actual_access:  read_only
        .address_space:  global
        .offset:         56
        .size:           8
        .value_kind:     global_buffer
      - .actual_access:  read_only
        .address_space:  global
        .offset:         64
        .size:           8
        .value_kind:     global_buffer
      - .actual_access:  read_only
        .address_space:  global
        .offset:         72
        .size:           8
        .value_kind:     global_buffer
      - .actual_access:  read_only
        .address_space:  global
        .offset:         80
        .size:           8
        .value_kind:     global_buffer
      - .actual_access:  read_only
        .address_space:  global
        .offset:         88
        .size:           8
        .value_kind:     global_buffer
      - .actual_access:  read_only
        .address_space:  global
        .offset:         96
        .size:           8
        .value_kind:     global_buffer
      - .actual_access:  read_only
        .address_space:  global
        .offset:         104
        .size:           8
        .value_kind:     global_buffer
      - .actual_access:  read_only
        .address_space:  global
        .offset:         112
        .size:           8
        .value_kind:     global_buffer
      - .actual_access:  read_only
        .address_space:  global
        .offset:         120
        .size:           8
        .value_kind:     global_buffer
      - .offset:         128
        .size:           12
        .value_kind:     by_value
      - .offset:         140
        .size:           4
        .value_kind:     by_value
      - .offset:         144
        .size:           4
        .value_kind:     by_value
      - .offset:         148
        .size:           4
        .value_kind:     by_value
      - .offset:         152
        .size:           4
        .value_kind:     hidden_block_count_x
      - .offset:         156
        .size:           4
        .value_kind:     hidden_block_count_y
      - .offset:         160
        .size:           4
        .value_kind:     hidden_block_count_z
      - .offset:         164
        .size:           2
        .value_kind:     hidden_group_size_x
      - .offset:         166
        .size:           2
        .value_kind:     hidden_group_size_y
      - .offset:         168
        .size:           2
        .value_kind:     hidden_group_size_z
      - .offset:         170
        .size:           2
        .value_kind:     hidden_remainder_x
      - .offset:         172
        .size:           2
        .value_kind:     hidden_remainder_y
      - .offset:         174
        .size:           2
        .value_kind:     hidden_remainder_z
      - .offset:         192
        .size:           8
        .value_kind:     hidden_global_offset_x
      - .offset:         200
        .size:           8
        .value_kind:     hidden_global_offset_y
      - .offset:         208
        .size:           8
        .value_kind:     hidden_global_offset_z
      - .offset:         216
        .size:           2
        .value_kind:     hidden_grid_dims
      - .offset:         272
        .size:           4
        .value_kind:     hidden_dynamic_lds_size
    .group_segment_fixed_size: 0
    .kernarg_segment_align: 8
    .kernarg_segment_size: 408
    .language:       OpenCL C
    .language_version:
      - 2
      - 0
    .max_flat_workgroup_size: 1024
    .name:           _Z18bond_wlcpowallviscPdS_S_PK15HIP_vector_typeIfLj4EES3_PKiPKS0_IiLj2EEPKdPKfSC_SC_SC_SC_SC_SC_SC_S0_IfLj3EEiii
    .private_segment_fixed_size: 20
    .sgpr_count:     68
    .sgpr_spill_count: 0
    .symbol:         _Z18bond_wlcpowallviscPdS_S_PK15HIP_vector_typeIfLj4EES3_PKiPKS0_IiLj2EEPKdPKfSC_SC_SC_SC_SC_SC_SC_S0_IfLj3EEiii.kd
    .uniform_work_group_size: 1
    .uses_dynamic_stack: false
    .vgpr_count:     64
    .vgpr_spill_count: 4
    .wavefront_size: 64
amdhsa.target:   amdgcn-amd-amdhsa--gfx906
amdhsa.version:
  - 1
  - 2
...

	.end_amdgpu_metadata
